;; amdgpu-corpus repo=ROCm/rocFFT kind=compiled arch=gfx906 opt=O3
	.text
	.amdgcn_target "amdgcn-amd-amdhsa--gfx906"
	.amdhsa_code_object_version 6
	.protected	bluestein_single_fwd_len952_dim1_sp_op_CI_CI ; -- Begin function bluestein_single_fwd_len952_dim1_sp_op_CI_CI
	.globl	bluestein_single_fwd_len952_dim1_sp_op_CI_CI
	.p2align	8
	.type	bluestein_single_fwd_len952_dim1_sp_op_CI_CI,@function
bluestein_single_fwd_len952_dim1_sp_op_CI_CI: ; @bluestein_single_fwd_len952_dim1_sp_op_CI_CI
; %bb.0:
	s_mov_b64 s[22:23], s[2:3]
	v_mul_u32_u24_e32 v1, 0x3c4, v0
	s_mov_b64 s[20:21], s[0:1]
	s_load_dwordx4 s[0:3], s[4:5], 0x28
	v_lshrrev_b32_e32 v1, 16, v1
	s_add_u32 s20, s20, s7
	v_mad_u64_u32 v[72:73], s[6:7], s6, 3, v[1:2]
	v_mov_b32_e32 v73, 0
	s_addc_u32 s21, s21, 0
	s_waitcnt lgkmcnt(0)
	v_cmp_gt_u64_e32 vcc, s[0:1], v[72:73]
	s_and_saveexec_b64 s[0:1], vcc
	s_cbranch_execz .LBB0_23
; %bb.1:
	s_mov_b32 s0, 0xaaaaaaab
	v_mul_hi_u32 v2, v72, s0
	v_mul_lo_u16_e32 v1, 0x44, v1
	s_load_dwordx2 s[12:13], s[4:5], 0x0
	s_load_dwordx2 s[14:15], s[4:5], 0x38
	v_sub_u16_e32 v107, v0, v1
	v_lshrrev_b32_e32 v0, 1, v2
	v_lshl_add_u32 v0, v0, 1, v0
	v_sub_u32_e32 v0, v72, v0
	v_mul_u32_u24_e32 v52, 0x3b8, v0
	v_cmp_gt_u16_e32 vcc, 56, v107
	v_lshlrev_b32_e32 v108, 3, v107
	v_lshlrev_b32_e32 v109, 3, v52
	s_and_saveexec_b64 s[6:7], vcc
	s_cbranch_execz .LBB0_3
; %bb.2:
	s_load_dwordx2 s[0:1], s[4:5], 0x18
	v_or_b32_e32 v28, 0x1c0, v107
	v_or_b32_e32 v75, 0x380, v107
	s_waitcnt lgkmcnt(0)
	s_load_dwordx4 s[8:11], s[0:1], 0x0
	s_waitcnt lgkmcnt(0)
	v_mad_u64_u32 v[0:1], s[0:1], s10, v72, 0
	v_mad_u64_u32 v[2:3], s[0:1], s8, v107, 0
	;; [unrolled: 1-line block ×4, first 2 shown]
	v_mov_b32_e32 v1, v4
	v_lshlrev_b64 v[0:1], 3, v[0:1]
	v_mov_b32_e32 v3, v5
	v_mov_b32_e32 v6, s3
	v_lshlrev_b64 v[2:3], 3, v[2:3]
	v_add_co_u32_e64 v51, s[0:1], s2, v0
	v_addc_co_u32_e64 v71, s[0:1], v6, v1, s[0:1]
	v_add_co_u32_e64 v0, s[0:1], v51, v2
	v_addc_co_u32_e64 v1, s[0:1], v71, v3, s[0:1]
	v_mov_b32_e32 v2, s13
	v_add_co_u32_e64 v45, s[0:1], s12, v108
	v_addc_co_u32_e64 v46, s[0:1], 0, v2, s[0:1]
	s_mul_i32 s0, s9, 0x1c0
	s_mul_hi_u32 s3, s8, 0x1c0
	s_add_i32 s3, s3, s0
	s_mul_i32 s2, s8, 0x1c0
	v_mov_b32_e32 v3, s3
	v_add_co_u32_e64 v2, s[0:1], s2, v0
	v_addc_co_u32_e64 v3, s[0:1], v1, v3, s[0:1]
	v_mov_b32_e32 v5, s3
	v_add_co_u32_e64 v4, s[0:1], s2, v2
	v_addc_co_u32_e64 v5, s[0:1], v3, v5, s[0:1]
	;; [unrolled: 3-line block ×3, first 2 shown]
	global_load_dwordx2 v[8:9], v[0:1], off
	global_load_dwordx2 v[10:11], v[2:3], off
	;; [unrolled: 1-line block ×4, first 2 shown]
	global_load_dwordx2 v[16:17], v108, s[12:13]
	global_load_dwordx2 v[18:19], v108, s[12:13] offset:448
	global_load_dwordx2 v[20:21], v108, s[12:13] offset:896
	;; [unrolled: 1-line block ×3, first 2 shown]
	v_mov_b32_e32 v1, s3
	v_add_co_u32_e64 v0, s[0:1], s2, v6
	v_addc_co_u32_e64 v1, s[0:1], v7, v1, s[0:1]
	global_load_dwordx2 v[2:3], v[0:1], off
	v_mov_b32_e32 v4, s3
	v_add_co_u32_e64 v0, s[0:1], s2, v0
	v_addc_co_u32_e64 v1, s[0:1], v1, v4, s[0:1]
	global_load_dwordx2 v[4:5], v[0:1], off
	v_mov_b32_e32 v6, s3
	v_add_co_u32_e64 v0, s[0:1], s2, v0
	v_addc_co_u32_e64 v1, s[0:1], v1, v6, s[0:1]
	v_mad_u64_u32 v[24:25], s[0:1], s8, v28, 0
	global_load_dwordx2 v[6:7], v[0:1], off
	v_mov_b32_e32 v26, s3
	v_add_co_u32_e64 v0, s[0:1], s2, v0
	v_addc_co_u32_e64 v1, s[0:1], v1, v26, s[0:1]
	global_load_dwordx2 v[26:27], v[0:1], off
	s_waitcnt vmcnt(0)
	v_mad_u64_u32 v[28:29], s[0:1], s9, v28, v[25:26]
	global_load_dwordx2 v[29:30], v108, s[12:13] offset:1792
	global_load_dwordx2 v[31:32], v108, s[12:13] offset:2240
	;; [unrolled: 1-line block ×4, first 2 shown]
	v_mov_b32_e32 v25, v28
	v_lshlrev_b64 v[24:25], 3, v[24:25]
	v_mov_b32_e32 v28, 0x380
	v_mad_u64_u32 v[0:1], s[0:1], s8, v28, v[0:1]
	v_add_co_u32_e64 v24, s[0:1], v51, v24
	v_addc_co_u32_e64 v25, s[0:1], v71, v25, s[0:1]
	s_mul_i32 s0, s9, 0x380
	v_add_u32_e32 v1, s0, v1
	global_load_dwordx2 v[24:25], v[24:25], off
	s_nop 0
	global_load_dwordx2 v[37:38], v[0:1], off
	global_load_dwordx2 v[39:40], v108, s[12:13] offset:3584
	global_load_dwordx2 v[41:42], v108, s[12:13] offset:4032
	v_mov_b32_e32 v28, s3
	v_add_co_u32_e64 v0, s[0:1], s2, v0
	v_addc_co_u32_e64 v1, s[0:1], v1, v28, s[0:1]
	s_movk_i32 s0, 0x1000
	v_add_co_u32_e64 v45, s[0:1], s0, v45
	v_addc_co_u32_e64 v46, s[0:1], 0, v46, s[0:1]
	global_load_dwordx2 v[43:44], v[0:1], off
	v_add_co_u32_e64 v0, s[0:1], s2, v0
	v_addc_co_u32_e64 v1, s[0:1], v1, v28, s[0:1]
	global_load_dwordx2 v[47:48], v[0:1], off
	v_add_co_u32_e64 v0, s[0:1], s2, v0
	v_addc_co_u32_e64 v1, s[0:1], v1, v28, s[0:1]
	global_load_dwordx2 v[49:50], v[0:1], off
	v_add_co_u32_e64 v0, s[0:1], s2, v0
	v_addc_co_u32_e64 v1, s[0:1], v1, v28, s[0:1]
	global_load_dwordx2 v[53:54], v[0:1], off
	global_load_dwordx2 v[55:56], v[45:46], off offset:384
	global_load_dwordx2 v[57:58], v[45:46], off offset:832
	;; [unrolled: 1-line block ×4, first 2 shown]
	v_add_co_u32_e64 v0, s[0:1], s2, v0
	v_addc_co_u32_e64 v1, s[0:1], v1, v28, s[0:1]
	v_mad_u64_u32 v[65:66], s[0:1], s8, v75, 0
	global_load_dwordx2 v[63:64], v[0:1], off
	v_add_co_u32_e64 v0, s[0:1], s2, v0
	v_addc_co_u32_e64 v1, s[0:1], v1, v28, s[0:1]
	v_mov_b32_e32 v28, v66
	s_waitcnt vmcnt(16)
	v_mad_u64_u32 v[66:67], s[0:1], s9, v75, v[28:29]
	global_load_dwordx2 v[67:68], v[0:1], off
	global_load_dwordx2 v[69:70], v[45:46], off offset:2176
	global_load_dwordx2 v[73:74], v[45:46], off offset:2624
	v_lshlrev_b32_e32 v28, 3, v75
	v_lshlrev_b64 v[0:1], 3, v[65:66]
	global_load_dwordx2 v[45:46], v28, s[12:13]
	v_add_co_u32_e64 v0, s[0:1], v51, v0
	v_addc_co_u32_e64 v1, s[0:1], v71, v1, s[0:1]
	global_load_dwordx2 v[0:1], v[0:1], off
	v_mul_f32_e32 v65, v9, v17
	v_fmac_f32_e32 v65, v8, v16
	v_mul_f32_e32 v8, v8, v17
	v_fma_f32 v66, v9, v16, -v8
	v_mul_f32_e32 v8, v11, v19
	v_mul_f32_e32 v9, v10, v19
	v_fmac_f32_e32 v8, v10, v18
	v_fma_f32 v9, v11, v18, -v9
	v_mul_f32_e32 v10, v13, v21
	v_mul_f32_e32 v11, v12, v21
	v_lshl_add_u32 v28, v107, 3, v109
	v_add_u32_e32 v16, v109, v108
	v_fmac_f32_e32 v10, v12, v20
	v_fma_f32 v11, v13, v20, -v11
	ds_write_b64 v28, v[65:66]
	ds_write2_b64 v16, v[8:9], v[10:11] offset0:56 offset1:112
	v_mul_f32_e32 v10, v3, v30
	v_fmac_f32_e32 v10, v2, v29
	v_mul_f32_e32 v2, v2, v30
	v_fma_f32 v11, v3, v29, -v2
	s_waitcnt vmcnt(20)
	v_mul_f32_e32 v2, v5, v32
	v_mul_f32_e32 v3, v4, v32
	v_fmac_f32_e32 v2, v4, v31
	v_fma_f32 v3, v5, v31, -v3
	s_waitcnt vmcnt(19)
	v_mul_f32_e32 v4, v7, v34
	v_mul_f32_e32 v5, v6, v34
	v_fmac_f32_e32 v4, v6, v33
	v_fma_f32 v5, v7, v33, -v5
	v_add_u32_e32 v6, 0x800, v16
	ds_write2_b64 v6, v[2:3], v[4:5] offset0:24 offset1:80
	s_waitcnt vmcnt(18)
	v_mul_f32_e32 v2, v27, v36
	v_mul_f32_e32 v3, v26, v36
	s_waitcnt vmcnt(15)
	v_mul_f32_e32 v4, v25, v40
	v_mul_f32_e32 v5, v24, v40
	v_fmac_f32_e32 v2, v26, v35
	v_fma_f32 v3, v27, v35, -v3
	v_fmac_f32_e32 v4, v24, v39
	v_fma_f32 v5, v25, v39, -v5
	ds_write2_b64 v6, v[2:3], v[4:5] offset0:136 offset1:192
	s_waitcnt vmcnt(14)
	v_mul_f32_e32 v2, v38, v42
	v_mul_f32_e32 v3, v37, v42
	s_waitcnt vmcnt(9)
	v_mul_f32_e32 v4, v44, v56
	v_mul_f32_e32 v5, v43, v56
	v_fmac_f32_e32 v2, v37, v41
	v_fma_f32 v3, v38, v41, -v3
	v_fmac_f32_e32 v4, v43, v55
	v_fma_f32 v5, v44, v55, -v5
	v_add_u32_e32 v6, 0xc00, v16
	ds_write2_b64 v6, v[2:3], v[4:5] offset0:120 offset1:176
	s_waitcnt vmcnt(8)
	v_mul_f32_e32 v2, v48, v58
	v_mul_f32_e32 v3, v47, v58
	s_waitcnt vmcnt(7)
	v_mul_f32_e32 v4, v50, v60
	v_mul_f32_e32 v5, v49, v60
	v_fmac_f32_e32 v2, v47, v57
	v_fma_f32 v3, v48, v57, -v3
	v_fmac_f32_e32 v4, v49, v59
	v_fma_f32 v5, v50, v59, -v5
	v_add_u32_e32 v6, 0x1000, v16
	ds_write2_b64 v6, v[2:3], v[4:5] offset0:104 offset1:160
	s_waitcnt vmcnt(6)
	v_mul_f32_e32 v2, v54, v62
	v_mul_f32_e32 v3, v53, v62
	v_fmac_f32_e32 v2, v53, v61
	v_fma_f32 v3, v54, v61, -v3
	v_add_u32_e32 v6, 0x1400, v16
	v_mul_f32_e32 v8, v15, v23
	v_mul_f32_e32 v9, v14, v23
	v_fmac_f32_e32 v8, v14, v22
	v_fma_f32 v9, v15, v22, -v9
	ds_write2_b64 v16, v[8:9], v[10:11] offset0:168 offset1:224
	s_waitcnt vmcnt(3)
	v_mul_f32_e32 v4, v64, v70
	v_mul_f32_e32 v5, v63, v70
	v_fmac_f32_e32 v4, v63, v69
	v_fma_f32 v5, v64, v69, -v5
	ds_write2_b64 v6, v[2:3], v[4:5] offset0:88 offset1:144
	s_waitcnt vmcnt(2)
	v_mul_f32_e32 v2, v68, v74
	v_mul_f32_e32 v3, v67, v74
	v_fmac_f32_e32 v2, v67, v73
	v_fma_f32 v3, v68, v73, -v3
	s_waitcnt vmcnt(0)
	v_mul_f32_e32 v4, v1, v46
	v_fmac_f32_e32 v4, v0, v45
	v_mul_f32_e32 v0, v0, v46
	v_fma_f32 v5, v1, v45, -v0
	v_add_u32_e32 v0, 0x1800, v16
	ds_write2_b64 v0, v[2:3], v[4:5] offset0:72 offset1:128
.LBB0_3:
	s_or_b64 exec, exec, s[6:7]
	v_mov_b32_e32 v4, 0
	v_mov_b32_e32 v5, 0
	s_waitcnt lgkmcnt(0)
	s_barrier
	s_waitcnt lgkmcnt(0)
                                        ; implicit-def: $vgpr34
                                        ; implicit-def: $vgpr0
                                        ; implicit-def: $vgpr30
                                        ; implicit-def: $vgpr26
                                        ; implicit-def: $vgpr22
                                        ; implicit-def: $vgpr18
                                        ; implicit-def: $vgpr14
                                        ; implicit-def: $vgpr10
	s_and_saveexec_b64 s[0:1], vcc
	s_cbranch_execz .LBB0_5
; %bb.4:
	v_lshl_add_u32 v0, v52, 3, v108
	v_add_u32_e32 v1, 0x400, v0
	ds_read2_b64 v[4:7], v0 offset1:56
	ds_read2_b64 v[8:11], v0 offset0:112 offset1:168
	ds_read2_b64 v[12:15], v1 offset0:96 offset1:152
	v_add_u32_e32 v1, 0x800, v0
	ds_read2_b64 v[16:19], v1 offset0:80 offset1:136
	ds_read2_b64 v[20:23], v1 offset0:192 offset1:248
	v_add_u32_e32 v1, 0x1000, v0
	;; [unrolled: 3-line block ×3, first 2 shown]
	ds_read2_b64 v[32:35], v1 offset0:16 offset1:72
	ds_read_b64 v[0:1], v0 offset:7168
.LBB0_5:
	s_or_b64 exec, exec, s[0:1]
	s_waitcnt lgkmcnt(0)
	v_sub_f32_e32 v97, v7, v1
	v_mul_f32_e32 v46, 0xbeb8f4ab, v97
	v_sub_f32_e32 v103, v9, v35
	v_add_f32_e32 v64, v0, v6
	v_sub_f32_e32 v70, v6, v0
	v_mov_b32_e32 v2, v46
	v_mul_f32_e32 v49, 0xbf2c7751, v103
	v_add_f32_e32 v101, v1, v7
	s_mov_b32 s2, 0x3f6eb680
	v_mul_f32_e32 v47, 0xbeb8f4ab, v70
	v_fmac_f32_e32 v2, 0x3f6eb680, v64
	v_add_f32_e32 v75, v34, v8
	v_sub_f32_e32 v78, v8, v34
	v_mov_b32_e32 v39, v49
	v_add_f32_e32 v2, v2, v4
	v_fma_f32 v3, v101, s2, -v47
	s_mov_b32 s3, 0x3f3d2fb0
	v_mul_f32_e32 v48, 0xbf2c7751, v97
	v_add_f32_e32 v115, v35, v9
	v_mul_f32_e32 v51, 0xbf2c7751, v78
	v_fmac_f32_e32 v39, 0x3f3d2fb0, v75
	v_add_f32_e32 v3, v3, v5
	v_mov_b32_e32 v36, v48
	v_add_f32_e32 v2, v39, v2
	v_fma_f32 v39, v115, s3, -v51
	v_mul_f32_e32 v54, 0xbf7ee86f, v103
	v_mul_f32_e32 v50, 0xbf2c7751, v70
	v_fmac_f32_e32 v36, 0x3f3d2fb0, v64
	v_add_f32_e32 v3, v39, v3
	v_mov_b32_e32 v39, v54
	v_add_f32_e32 v36, v36, v4
	v_fma_f32 v37, v101, s3, -v50
	v_mul_f32_e32 v53, 0xbf65296c, v97
	s_mov_b32 s11, 0x3dbcf732
	v_mul_f32_e32 v57, 0xbf7ee86f, v78
	v_fmac_f32_e32 v39, 0x3dbcf732, v75
	v_add_f32_e32 v37, v37, v5
	v_mov_b32_e32 v38, v53
	v_add_f32_e32 v36, v39, v36
	v_fma_f32 v39, v115, s11, -v57
	v_mul_f32_e32 v60, 0xbf4c4adb, v103
	v_fmac_f32_e32 v38, 0x3ee437d1, v64
	v_add_f32_e32 v37, v39, v37
	v_mov_b32_e32 v39, v60
	v_sub_f32_e32 v117, v11, v33
	v_add_f32_e32 v38, v38, v4
	v_fmac_f32_e32 v39, 0xbf1a4643, v75
	v_mul_f32_e32 v55, 0xbf65296c, v117
	v_add_f32_e32 v38, v39, v38
	v_add_f32_e32 v82, v32, v10
	v_sub_f32_e32 v85, v10, v32
	v_mov_b32_e32 v39, v55
	s_mov_b32 s10, 0x3ee437d1
	v_add_f32_e32 v123, v33, v11
	v_mul_f32_e32 v58, 0xbf65296c, v85
	v_fmac_f32_e32 v39, 0x3ee437d1, v82
	v_add_f32_e32 v2, v39, v2
	v_fma_f32 v39, v123, s10, -v58
	v_mul_f32_e32 v61, 0xbf4c4adb, v117
	v_add_f32_e32 v3, v39, v3
	v_mov_b32_e32 v39, v61
	s_mov_b32 s18, 0xbf1a4643
	v_mul_f32_e32 v63, 0xbf4c4adb, v85
	v_fmac_f32_e32 v39, 0xbf1a4643, v82
	v_add_f32_e32 v36, v39, v36
	v_fma_f32 v39, v123, s18, -v63
	v_mul_f32_e32 v67, 0x3e3c28d5, v117
	v_add_f32_e32 v37, v39, v37
	v_mov_b32_e32 v39, v67
	v_sub_f32_e32 v128, v13, v31
	v_fmac_f32_e32 v39, 0xbf7ba420, v82
	v_mul_f32_e32 v59, 0xbf7ee86f, v128
	v_add_f32_e32 v38, v39, v38
	v_add_f32_e32 v89, v30, v12
	v_sub_f32_e32 v92, v12, v30
	v_mov_b32_e32 v39, v59
	v_add_f32_e32 v145, v31, v13
	v_mul_f32_e32 v62, 0xbf7ee86f, v92
	v_fmac_f32_e32 v39, 0x3dbcf732, v89
	v_add_f32_e32 v2, v39, v2
	v_fma_f32 v39, v145, s11, -v62
	v_mul_f32_e32 v66, 0xbe3c28d5, v128
	v_add_f32_e32 v3, v39, v3
	v_mov_b32_e32 v39, v66
	s_mov_b32 s17, 0xbf7ba420
	v_mul_f32_e32 v69, 0xbe3c28d5, v92
	v_fmac_f32_e32 v39, 0xbf7ba420, v89
	v_add_f32_e32 v36, v39, v36
	v_fma_f32 v39, v145, s17, -v69
	v_mul_f32_e32 v74, 0x3f763a35, v128
	v_add_f32_e32 v37, v39, v37
	v_mov_b32_e32 v39, v74
	v_sub_f32_e32 v149, v15, v29
	v_fmac_f32_e32 v39, 0xbe8c1d8e, v89
	v_mul_f32_e32 v65, 0xbf763a35, v149
	v_add_f32_e32 v38, v39, v38
	v_add_f32_e32 v95, v28, v14
	v_sub_f32_e32 v98, v14, v28
	v_mov_b32_e32 v39, v65
	s_mov_b32 s16, 0xbe8c1d8e
	v_add_f32_e32 v138, v29, v15
	v_mul_f32_e32 v68, 0xbf763a35, v98
	v_fmac_f32_e32 v39, 0xbe8c1d8e, v95
	v_add_f32_e32 v2, v39, v2
	v_fma_f32 v39, v138, s16, -v68
	v_mul_f32_e32 v73, 0x3f06c442, v149
	v_add_f32_e32 v3, v39, v3
	v_mov_b32_e32 v39, v73
	s_mov_b32 s19, 0xbf59a7d5
	v_mul_f32_e32 v77, 0x3f06c442, v98
	v_fmac_f32_e32 v39, 0xbf59a7d5, v95
	v_add_f32_e32 v36, v39, v36
	v_fma_f32 v39, v138, s19, -v77
	v_mul_f32_e32 v81, 0x3f2c7751, v149
	v_add_f32_e32 v37, v39, v37
	v_mov_b32_e32 v39, v81
	v_sub_f32_e32 v163, v17, v27
	v_fmac_f32_e32 v39, 0x3f3d2fb0, v95
	v_mul_f32_e32 v71, 0xbf4c4adb, v163
	v_add_f32_e32 v38, v39, v38
	v_add_f32_e32 v100, v26, v16
	v_sub_f32_e32 v102, v16, v26
	v_mov_b32_e32 v39, v71
	v_add_f32_e32 v137, v27, v17
	v_mul_f32_e32 v76, 0xbf4c4adb, v102
	v_fmac_f32_e32 v39, 0xbf1a4643, v100
	v_add_f32_e32 v2, v39, v2
	v_fma_f32 v39, v137, s18, -v76
	v_mul_f32_e32 v80, 0x3f763a35, v163
	v_add_f32_e32 v3, v39, v3
	v_mov_b32_e32 v39, v80
	v_mul_f32_e32 v84, 0x3f763a35, v102
	v_fmac_f32_e32 v39, 0xbe8c1d8e, v100
	v_add_f32_e32 v36, v39, v36
	v_fma_f32 v39, v137, s16, -v84
	v_mul_f32_e32 v88, 0xbeb8f4ab, v163
	v_add_f32_e32 v37, v39, v37
	v_mov_b32_e32 v39, v88
	v_sub_f32_e32 v169, v19, v25
	v_fmac_f32_e32 v39, 0x3f6eb680, v100
	v_mul_f32_e32 v79, 0xbf06c442, v169
	v_add_f32_e32 v38, v39, v38
	v_add_f32_e32 v113, v24, v18
	v_sub_f32_e32 v116, v18, v24
	v_mov_b32_e32 v39, v79
	v_add_f32_e32 v140, v25, v19
	v_mul_f32_e32 v83, 0xbf06c442, v116
	v_fmac_f32_e32 v39, 0xbf59a7d5, v113
	v_add_f32_e32 v2, v39, v2
	v_fma_f32 v39, v140, s19, -v83
	v_mul_f32_e32 v87, 0x3f65296c, v169
	v_add_f32_e32 v3, v39, v3
	v_mov_b32_e32 v39, v87
	;; [unrolled: 22-line block ×3, first 2 shown]
	v_mul_f32_e32 v96, 0x3eb8f4ab, v125
	v_fmac_f32_e32 v38, 0x3f6eb680, v120
	v_add_f32_e32 v38, v38, v36
	v_fma_f32 v36, v143, s2, -v96
	v_mul_f32_e32 v99, 0xbf06c442, v178
	v_mul_f32_e32 v56, 0xbf65296c, v70
	v_add_f32_e32 v39, v36, v37
	v_mov_b32_e32 v36, v99
	v_fmac_f32_e32 v36, 0xbf59a7d5, v120
	v_fma_f32 v37, v101, s10, -v56
	v_mul_f32_e32 v104, 0xbf4c4adb, v78
	v_add_f32_e32 v36, v36, v40
	v_add_f32_e32 v37, v37, v5
	v_fma_f32 v40, v115, s18, -v104
	v_mul_f32_e32 v105, 0x3e3c28d5, v85
	v_add_f32_e32 v37, v40, v37
	v_fma_f32 v40, v123, s17, -v105
	v_mul_f32_e32 v106, 0x3f763a35, v92
	;; [unrolled: 3-line block ×7, first 2 shown]
	v_add_f32_e32 v37, v40, v37
	v_mov_b32_e32 v40, v118
	v_mul_f32_e32 v119, 0xbe3c28d5, v103
	v_fmac_f32_e32 v40, 0x3dbcf732, v64
	v_mov_b32_e32 v41, v119
	v_add_f32_e32 v40, v40, v4
	v_fmac_f32_e32 v41, 0xbf7ba420, v75
	v_mul_f32_e32 v126, 0xbf7ee86f, v70
	v_add_f32_e32 v40, v41, v40
	v_fma_f32 v41, v101, s11, -v126
	v_mul_f32_e32 v127, 0xbe3c28d5, v78
	v_add_f32_e32 v41, v41, v5
	v_fma_f32 v42, v115, s17, -v127
	v_mul_f32_e32 v121, 0x3f763a35, v117
	v_add_f32_e32 v41, v42, v41
	v_mov_b32_e32 v42, v121
	v_fmac_f32_e32 v42, 0xbe8c1d8e, v82
	v_mul_f32_e32 v130, 0x3f763a35, v85
	v_add_f32_e32 v40, v42, v40
	v_fma_f32 v42, v123, s16, -v130
	v_mul_f32_e32 v122, 0x3eb8f4ab, v128
	v_add_f32_e32 v41, v42, v41
	v_mov_b32_e32 v42, v122
	v_fmac_f32_e32 v42, 0x3f6eb680, v89
	;; [unrolled: 7-line block ×6, first 2 shown]
	v_mul_f32_e32 v147, 0x3f2c7751, v125
	v_mul_f32_e32 v159, 0xbf763a35, v97
	v_fma_f32 v43, v143, s3, -v147
	v_add_f32_e32 v42, v42, v40
	v_mov_b32_e32 v40, v159
	v_mul_f32_e32 v161, 0x3f06c442, v103
	v_add_f32_e32 v43, v43, v41
	v_fmac_f32_e32 v40, 0xbe8c1d8e, v64
	v_mov_b32_e32 v41, v161
	v_add_f32_e32 v40, v40, v4
	v_fmac_f32_e32 v41, 0xbf59a7d5, v75
	v_mul_f32_e32 v162, 0x3f2c7751, v117
	v_add_f32_e32 v40, v41, v40
	v_mov_b32_e32 v41, v162
	v_fmac_f32_e32 v41, 0x3f3d2fb0, v82
	v_mul_f32_e32 v164, 0xbf65296c, v128
	v_add_f32_e32 v40, v41, v40
	v_mov_b32_e32 v41, v164
	;; [unrolled: 4-line block ×6, first 2 shown]
	v_fmac_f32_e32 v41, 0xbf1a4643, v120
	v_mul_f32_e32 v170, 0xbf763a35, v70
	v_add_f32_e32 v40, v41, v40
	v_fma_f32 v41, v101, s16, -v170
	v_mul_f32_e32 v171, 0x3f06c442, v78
	v_add_f32_e32 v41, v41, v5
	v_fma_f32 v44, v115, s19, -v171
	;; [unrolled: 3-line block ×5, first 2 shown]
	v_mul_f32_e32 v175, 0x3f7ee86f, v102
	s_load_dwordx2 s[6:7], s[4:5], 0x20
	s_load_dwordx2 s[8:9], s[4:5], 0x8
	v_add_f32_e32 v41, v44, v41
	v_fma_f32 v44, v137, s11, -v175
	v_mul_f32_e32 v176, 0xbeb8f4ab, v116
	v_add_f32_e32 v41, v44, v41
	v_fma_f32 v44, v140, s2, -v176
	v_mul_f32_e32 v177, 0xbf4c4adb, v125
	v_add_f32_e32 v41, v44, v41
	v_fma_f32 v44, v143, s18, -v177
	v_add_f32_e32 v41, v44, v41
	s_waitcnt lgkmcnt(0)
	s_barrier
	s_and_saveexec_b64 s[0:1], vcc
	s_cbranch_execz .LBB0_7
; %bb.6:
	v_mul_f32_e32 v217, 0xbf1a4643, v101
	v_mov_b32_e32 v44, v217
	v_mul_f32_e32 v218, 0xbe8c1d8e, v115
	v_fmac_f32_e32 v44, 0x3f4c4adb, v70
	v_mov_b32_e32 v45, v218
	v_add_f32_e32 v44, v44, v5
	v_fmac_f32_e32 v45, 0xbf763a35, v78
	v_mul_f32_e32 v219, 0x3f6eb680, v123
	v_add_f32_e32 v44, v45, v44
	v_mov_b32_e32 v45, v219
	v_fmac_f32_e32 v45, 0x3eb8f4ab, v85
	v_mul_f32_e32 v220, 0xbf59a7d5, v145
	v_add_f32_e32 v44, v45, v44
	v_mov_b32_e32 v45, v220
	v_fmac_f32_e32 v45, 0x3f06c442, v92
	v_mul_f32_e32 v221, 0x3dbcf732, v138
	v_add_f32_e32 v44, v45, v44
	v_mov_b32_e32 v45, v221
	v_fmac_f32_e32 v45, 0xbf7ee86f, v98
	v_mul_f32_e32 v222, 0x3f3d2fb0, v137
	v_add_f32_e32 v44, v45, v44
	v_mov_b32_e32 v45, v222
	v_fmac_f32_e32 v45, 0x3f2c7751, v102
	v_mul_f32_e32 v223, 0xbf7ba420, v140
	v_add_f32_e32 v44, v45, v44
	v_mov_b32_e32 v45, v223
	v_fmac_f32_e32 v45, 0x3e3c28d5, v116
	v_mul_f32_e32 v224, 0x3ee437d1, v143
	v_add_f32_e32 v44, v45, v44
	v_mov_b32_e32 v45, v224
	v_fmac_f32_e32 v45, 0xbf65296c, v125
	v_mul_f32_e32 v225, 0xbf4c4adb, v97
	v_add_f32_e32 v45, v45, v44
	v_mov_b32_e32 v44, v225
	v_mul_f32_e32 v226, 0x3f763a35, v103
	v_fmac_f32_e32 v44, 0xbf1a4643, v64
	v_mov_b32_e32 v179, v226
	v_add_f32_e32 v44, v44, v4
	v_fmac_f32_e32 v179, 0xbe8c1d8e, v75
	v_mul_f32_e32 v227, 0xbeb8f4ab, v117
	v_add_f32_e32 v44, v179, v44
	v_mov_b32_e32 v179, v227
	v_fmac_f32_e32 v179, 0x3f6eb680, v82
	v_mul_f32_e32 v228, 0xbf06c442, v128
	v_add_f32_e32 v44, v179, v44
	v_mov_b32_e32 v179, v228
	v_fmac_f32_e32 v179, 0xbf59a7d5, v89
	v_mul_f32_e32 v229, 0x3f7ee86f, v149
	v_add_f32_e32 v44, v179, v44
	v_mov_b32_e32 v179, v229
	v_fmac_f32_e32 v179, 0x3dbcf732, v95
	v_mul_f32_e32 v230, 0xbf2c7751, v163
	v_add_f32_e32 v44, v179, v44
	v_mov_b32_e32 v179, v230
	v_fmac_f32_e32 v179, 0x3f3d2fb0, v100
	v_mul_f32_e32 v231, 0xbe3c28d5, v169
	v_add_f32_e32 v44, v179, v44
	v_mov_b32_e32 v179, v231
	v_fmac_f32_e32 v179, 0xbf7ba420, v113
	v_mul_f32_e32 v232, 0x3f65296c, v178
	v_add_f32_e32 v44, v179, v44
	v_mov_b32_e32 v179, v232
	v_fmac_f32_e32 v179, 0x3ee437d1, v120
	v_mul_f32_e32 v183, 0xbf59a7d5, v101
	v_add_f32_e32 v44, v179, v44
	;; [unrolled: 32-line block ×3, first 2 shown]
	v_mov_b32_e32 v179, v239
	v_mul_f32_e32 v240, 0x3f65296c, v103
	v_fmac_f32_e32 v179, 0xbf59a7d5, v64
	v_mov_b32_e32 v181, v240
	v_add_f32_e32 v179, v179, v4
	v_fmac_f32_e32 v181, 0x3ee437d1, v75
	v_mul_f32_e32 v241, 0xbf7ee86f, v117
	v_add_f32_e32 v179, v181, v179
	v_mov_b32_e32 v181, v241
	v_fmac_f32_e32 v181, 0x3dbcf732, v82
	v_mul_f32_e32 v242, 0x3f4c4adb, v128
	v_add_f32_e32 v179, v181, v179
	v_mov_b32_e32 v181, v242
	;; [unrolled: 4-line block ×6, first 2 shown]
	v_mul_f32_e32 v142, 0x3f6eb680, v101
	v_mul_f32_e32 v157, 0x3f3d2fb0, v101
	;; [unrolled: 1-line block ×5, first 2 shown]
	v_fmac_f32_e32 v181, 0xbe8c1d8e, v120
	v_mul_f32_e32 v101, 0xbf7ba420, v101
	v_mul_f32_e32 v148, 0x3f3d2fb0, v115
	;; [unrolled: 1-line block ×6, first 2 shown]
	v_add_f32_e32 v179, v181, v179
	v_mov_b32_e32 v181, v101
	v_mul_f32_e32 v115, 0x3f6eb680, v115
	v_fmac_f32_e32 v181, 0x3e3c28d5, v70
	v_mov_b32_e32 v182, v115
	v_mul_f32_e32 v151, 0x3ee437d1, v123
	v_mul_f32_e32 v197, 0xbf1a4643, v123
	;; [unrolled: 1-line block ×5, first 2 shown]
	v_add_f32_e32 v181, v181, v5
	v_fmac_f32_e32 v182, 0xbeb8f4ab, v78
	v_mul_f32_e32 v123, 0xbf59a7d5, v123
	v_add_f32_e32 v181, v182, v181
	v_mov_b32_e32 v182, v123
	v_mul_f32_e32 v153, 0x3dbcf732, v145
	v_mul_f32_e32 v204, 0xbf7ba420, v145
	;; [unrolled: 1-line block ×5, first 2 shown]
	v_fmac_f32_e32 v182, 0x3f06c442, v85
	v_mul_f32_e32 v145, 0x3f3d2fb0, v145
	v_add_f32_e32 v181, v182, v181
	v_mov_b32_e32 v182, v145
	v_fmac_f32_e32 v182, 0xbf2c7751, v92
	v_mul_f32_e32 v247, 0xbf1a4643, v138
	v_add_f32_e32 v181, v182, v181
	v_mov_b32_e32 v182, v247
	;; [unrolled: 4-line block ×6, first 2 shown]
	v_mul_f32_e32 v103, 0x3eb8f4ab, v103
	v_fmac_f32_e32 v101, 0xbe3c28d5, v70
	v_fmac_f32_e32 v181, 0xbf7ba420, v64
	v_mov_b32_e32 v251, v103
	v_add_f32_e32 v101, v101, v5
	v_fmac_f32_e32 v115, 0x3eb8f4ab, v78
	v_add_f32_e32 v181, v181, v4
	v_fmac_f32_e32 v251, 0x3f6eb680, v75
	v_mul_f32_e32 v117, 0xbf06c442, v117
	v_add_f32_e32 v101, v115, v101
	v_fmac_f32_e32 v123, 0xbf06c442, v85
	v_fma_f32 v97, v64, s17, -v97
	v_add_f32_e32 v181, v251, v181
	v_mov_b32_e32 v251, v117
	v_add_f32_e32 v101, v123, v101
	v_fmac_f32_e32 v145, 0x3f2c7751, v92
	v_add_f32_e32 v97, v97, v4
	v_fma_f32 v103, v75, s2, -v103
	v_fmac_f32_e32 v217, 0xbf4c4adb, v70
	v_fmac_f32_e32 v251, 0xbf59a7d5, v82
	v_mul_f32_e32 v128, 0x3f2c7751, v128
	v_add_f32_e32 v101, v145, v101
	v_fmac_f32_e32 v247, 0xbf4c4adb, v98
	v_add_f32_e32 v97, v103, v97
	v_fma_f32 v117, v82, s19, -v117
	v_fmac_f32_e32 v183, 0xbf06c442, v70
	v_add_f32_e32 v70, v217, v5
	v_fmac_f32_e32 v218, 0x3f763a35, v78
	v_add_f32_e32 v181, v251, v181
	v_mov_b32_e32 v251, v128
	v_mul_f32_e32 v149, 0xbf4c4adb, v149
	v_add_f32_e32 v101, v247, v101
	v_fmac_f32_e32 v248, 0x3f65296c, v102
	v_add_f32_e32 v97, v117, v97
	v_fma_f32 v128, v89, s3, -v128
	v_add_f32_e32 v70, v218, v70
	v_fmac_f32_e32 v219, 0xbeb8f4ab, v85
	v_mul_f32_e32 v163, 0x3f65296c, v163
	v_mul_f32_e32 v115, 0xbf1a4643, v137
	;; [unrolled: 1-line block ×3, first 2 shown]
	v_add_f32_e32 v101, v248, v101
	v_mul_f32_e32 v248, 0x3f6eb680, v137
	v_mul_f32_e32 v103, 0xbf59a7d5, v137
	;; [unrolled: 1-line block ×3, first 2 shown]
	v_add_f32_e32 v97, v128, v97
	v_fma_f32 v137, v95, s18, -v149
	v_add_f32_e32 v70, v219, v70
	v_fmac_f32_e32 v220, 0xbf06c442, v92
	v_mul_f32_e32 v169, 0xbf763a35, v169
	v_fmac_f32_e32 v249, 0xbf763a35, v116
	v_add_f32_e32 v97, v137, v97
	v_fma_f32 v137, v100, s10, -v163
	v_add_f32_e32 v70, v220, v70
	v_fmac_f32_e32 v221, 0x3f7ee86f, v98
	v_mul_f32_e32 v178, 0x3f7ee86f, v178
	v_add_f32_e32 v101, v249, v101
	v_add_f32_e32 v97, v137, v97
	v_fma_f32 v137, v113, s16, -v169
	v_fmac_f32_e32 v250, 0x3f7ee86f, v125
	v_add_f32_e32 v70, v221, v70
	v_fmac_f32_e32 v222, 0xbf2c7751, v102
	v_mul_f32_e32 v155, 0xbe8c1d8e, v138
	v_mul_f32_e32 v212, 0xbf59a7d5, v138
	;; [unrolled: 1-line block ×5, first 2 shown]
	v_add_f32_e32 v97, v137, v97
	v_add_f32_e32 v138, v250, v101
	v_fma_f32 v101, v120, s11, -v178
	v_add_f32_e32 v70, v222, v70
	v_fmac_f32_e32 v223, 0xbe3c28d5, v116
	v_mul_f32_e32 v132, 0x3f6eb680, v64
	v_mul_f32_e32 v152, 0x3f3d2fb0, v64
	;; [unrolled: 1-line block ×5, first 2 shown]
	v_add_f32_e32 v137, v101, v97
	v_add_f32_e32 v97, v183, v5
	v_fmac_f32_e32 v184, 0x3f65296c, v78
	v_fma_f32 v183, v64, s19, -v239
	v_add_f32_e32 v70, v223, v70
	v_fmac_f32_e32 v224, 0x3f65296c, v125
	v_fma_f32 v64, v64, s18, -v225
	v_add_f32_e32 v97, v184, v97
	v_fmac_f32_e32 v233, 0xbf7ee86f, v85
	v_fmac_f32_e32 v235, 0xbeb8f4ab, v98
	v_add_f32_e32 v183, v183, v4
	v_fma_f32 v184, v75, s10, -v240
	v_add_f32_e32 v98, v224, v70
	v_add_f32_e32 v64, v64, v4
	v_fma_f32 v70, v75, s16, -v226
	v_add_f32_e32 v97, v233, v97
	v_fmac_f32_e32 v234, 0x3f4c4adb, v92
	v_add_f32_e32 v183, v184, v183
	v_fma_f32 v184, v82, s11, -v241
	v_add_f32_e32 v64, v70, v64
	v_fma_f32 v70, v82, s2, -v227
	v_add_f32_e32 v97, v234, v97
	v_add_f32_e32 v183, v184, v183
	v_fma_f32 v184, v89, s18, -v242
	v_add_f32_e32 v64, v70, v64
	v_fma_f32 v70, v89, s19, -v228
	v_add_f32_e32 v97, v235, v97
	v_fmac_f32_e32 v236, 0xbe3c28d5, v102
	v_add_f32_e32 v183, v184, v183
	v_fma_f32 v184, v95, s2, -v243
	v_add_f32_e32 v64, v70, v64
	v_fma_f32 v70, v95, s11, -v229
	v_add_f32_e32 v97, v236, v97
	v_fmac_f32_e32 v237, 0x3f2c7751, v116
	v_add_f32_e32 v183, v184, v183
	v_fma_f32 v184, v100, s17, -v244
	v_add_f32_e32 v64, v70, v64
	v_fma_f32 v70, v100, s3, -v230
	v_add_f32_e32 v97, v237, v97
	v_add_f32_e32 v183, v184, v183
	v_fma_f32 v184, v113, s3, -v245
	v_fmac_f32_e32 v238, 0xbf763a35, v125
	v_add_f32_e32 v64, v70, v64
	v_fma_f32 v70, v113, s17, -v231
	v_add_f32_e32 v183, v184, v183
	v_add_f32_e32 v184, v238, v97
	v_fma_f32 v97, v120, s16, -v246
	v_add_f32_e32 v64, v70, v64
	v_fma_f32 v70, v120, s10, -v232
	v_add_f32_e32 v183, v97, v183
	v_add_f32_e32 v97, v70, v64
	;; [unrolled: 1-line block ×5, first 2 shown]
	v_fmac_f32_e32 v251, 0x3f3d2fb0, v89
	v_add_f32_e32 v64, v70, v64
	v_add_f32_e32 v70, v172, v203
	;; [unrolled: 1-line block ×3, first 2 shown]
	v_mov_b32_e32 v251, v149
	v_add_f32_e32 v64, v70, v64
	v_add_f32_e32 v70, v173, v210
	v_fmac_f32_e32 v251, 0xbf1a4643, v95
	v_add_f32_e32 v64, v70, v64
	v_add_f32_e32 v70, v174, v252
	;; [unrolled: 1-line block ×3, first 2 shown]
	v_mov_b32_e32 v251, v163
	v_mul_f32_e32 v101, 0x3f6eb680, v140
	v_add_f32_e32 v64, v70, v64
	v_add_f32_e32 v70, v175, v254
	v_fmac_f32_e32 v251, 0x3ee437d1, v100
	v_mul_f32_e32 v235, 0xbf7ba420, v143
	v_mul_f32_e32 v237, 0x3f6eb680, v143
	v_mul_f32_e32 v240, 0xbf59a7d5, v143
	v_mul_f32_e32 v242, 0x3f3d2fb0, v143
	v_mul_f32_e32 v143, 0xbf1a4643, v143
	v_add_f32_e32 v64, v70, v64
	v_add_f32_e32 v70, v176, v101
	;; [unrolled: 1-line block ×3, first 2 shown]
	v_mov_b32_e32 v251, v169
	v_add_f32_e32 v64, v70, v64
	v_add_f32_e32 v70, v177, v143
	v_mul_f32_e32 v195, 0xbf59a7d5, v75
	v_fmac_f32_e32 v251, 0xbe8c1d8e, v113
	v_add_f32_e32 v101, v70, v64
	v_sub_f32_e32 v64, v189, v159
	v_mul_f32_e32 v202, 0x3f3d2fb0, v82
	v_add_f32_e32 v181, v251, v181
	v_mov_b32_e32 v251, v178
	v_add_f32_e32 v64, v64, v4
	v_sub_f32_e32 v70, v195, v161
	v_mul_f32_e32 v209, 0x3ee437d1, v89
	v_fmac_f32_e32 v251, 0x3dbcf732, v120
	v_add_f32_e32 v64, v70, v64
	v_sub_f32_e32 v70, v202, v162
	v_add_f32_e32 v181, v251, v181
	v_mul_f32_e32 v251, 0xbf7ba420, v95
	v_add_f32_e32 v64, v70, v64
	v_sub_f32_e32 v70, v209, v164
	v_mul_f32_e32 v117, 0x3dbcf732, v100
	v_add_f32_e32 v64, v70, v64
	v_sub_f32_e32 v70, v251, v165
	v_mul_f32_e32 v234, 0x3f6eb680, v113
	v_add_f32_e32 v64, v70, v64
	v_sub_f32_e32 v70, v117, v166
	v_mul_f32_e32 v243, 0xbf1a4643, v120
	v_add_f32_e32 v64, v70, v64
	v_sub_f32_e32 v70, v234, v167
	v_add_f32_e32 v64, v70, v64
	v_sub_f32_e32 v70, v243, v168
	v_mul_f32_e32 v253, 0xbf1a4643, v100
	v_mul_f32_e32 v123, 0xbe8c1d8e, v100
	;; [unrolled: 1-line block ×4, first 2 shown]
	v_add_f32_e32 v100, v70, v64
	v_add_f32_e32 v64, v126, v188
	;; [unrolled: 1-line block ×10, first 2 shown]
	v_mul_f32_e32 v233, 0xbf1a4643, v140
	v_add_f32_e32 v64, v70, v64
	v_add_f32_e32 v70, v139, v103
	;; [unrolled: 1-line block ×6, first 2 shown]
	v_mul_f32_e32 v193, 0xbf7ba420, v75
	v_add_f32_e32 v103, v70, v64
	v_sub_f32_e32 v64, v187, v118
	v_mul_f32_e32 v200, 0xbe8c1d8e, v82
	v_add_f32_e32 v64, v64, v4
	v_sub_f32_e32 v70, v193, v119
	;; [unrolled: 3-line block ×4, first 2 shown]
	v_add_f32_e32 v64, v70, v64
	v_sub_f32_e32 v70, v215, v124
	v_mul_f32_e32 v255, 0xbf1a4643, v113
	v_add_f32_e32 v64, v70, v64
	v_sub_f32_e32 v70, v249, v129
	v_mul_f32_e32 v241, 0x3f3d2fb0, v120
	v_add_f32_e32 v64, v70, v64
	v_sub_f32_e32 v70, v255, v131
	v_add_f32_e32 v64, v70, v64
	v_sub_f32_e32 v70, v241, v134
	v_add_f32_e32 v56, v56, v186
	v_add_f32_e32 v102, v70, v64
	;; [unrolled: 1-line block ×10, first 2 shown]
	v_mul_f32_e32 v250, 0x3dbcf732, v140
	v_add_f32_e32 v56, v64, v56
	v_add_f32_e32 v64, v111, v248
	;; [unrolled: 1-line block ×4, first 2 shown]
	v_mul_f32_e32 v191, 0xbf1a4643, v75
	v_add_f32_e32 v56, v64, v56
	v_add_f32_e32 v64, v114, v240
	v_sub_f32_e32 v53, v185, v53
	v_mul_f32_e32 v135, 0x3f3d2fb0, v75
	v_mul_f32_e32 v154, 0x3dbcf732, v75
	;; [unrolled: 1-line block ×3, first 2 shown]
	v_add_f32_e32 v75, v64, v56
	v_add_f32_e32 v53, v53, v4
	v_sub_f32_e32 v56, v191, v60
	v_mul_f32_e32 v205, 0xbe8c1d8e, v89
	v_add_f32_e32 v53, v56, v53
	v_sub_f32_e32 v56, v198, v67
	v_mul_f32_e32 v213, 0x3f3d2fb0, v95
	v_add_f32_e32 v53, v56, v53
	v_sub_f32_e32 v56, v205, v74
	v_add_f32_e32 v53, v56, v53
	v_sub_f32_e32 v56, v213, v81
	v_mul_f32_e32 v178, 0x3dbcf732, v113
	v_add_f32_e32 v53, v56, v53
	v_sub_f32_e32 v56, v247, v88
	v_mul_f32_e32 v239, 0xbf59a7d5, v120
	v_add_f32_e32 v53, v56, v53
	v_sub_f32_e32 v56, v178, v94
	v_add_f32_e32 v53, v56, v53
	v_sub_f32_e32 v56, v239, v99
	v_add_f32_e32 v50, v50, v157
	v_add_f32_e32 v74, v56, v53
	;; [unrolled: 1-line block ×10, first 2 shown]
	v_mul_f32_e32 v169, 0x3ee437d1, v140
	v_add_f32_e32 v50, v53, v50
	v_add_f32_e32 v53, v84, v145
	;; [unrolled: 1-line block ×6, first 2 shown]
	v_sub_f32_e32 v48, v152, v48
	v_mul_f32_e32 v156, 0xbf1a4643, v82
	v_add_f32_e32 v57, v53, v50
	v_add_f32_e32 v48, v48, v4
	v_sub_f32_e32 v50, v154, v54
	v_mul_f32_e32 v158, 0xbf7ba420, v89
	v_add_f32_e32 v48, v50, v48
	v_sub_f32_e32 v50, v156, v61
	v_mul_f32_e32 v211, 0xbf59a7d5, v95
	v_add_f32_e32 v48, v50, v48
	v_sub_f32_e32 v50, v158, v66
	v_add_f32_e32 v48, v50, v48
	v_sub_f32_e32 v50, v211, v73
	v_mul_f32_e32 v163, 0x3ee437d1, v113
	v_add_f32_e32 v48, v50, v48
	v_sub_f32_e32 v50, v123, v80
	v_sub_f32_e32 v46, v132, v46
	v_mul_f32_e32 v236, 0x3f6eb680, v120
	v_add_f32_e32 v48, v50, v48
	v_sub_f32_e32 v50, v163, v87
	v_add_f32_e32 v47, v47, v142
	v_add_f32_e32 v46, v46, v4
	;; [unrolled: 1-line block ×4, first 2 shown]
	v_sub_f32_e32 v50, v236, v93
	v_add_f32_e32 v47, v47, v5
	v_add_f32_e32 v5, v7, v5
	;; [unrolled: 1-line block ×19, first 2 shown]
	v_mul_f32_e32 v149, 0xbf59a7d5, v140
	v_add_f32_e32 v47, v48, v47
	v_add_f32_e32 v48, v76, v115
	;; [unrolled: 1-line block ×12, first 2 shown]
	v_mul_f32_e32 v141, 0x3ee437d1, v82
	v_add_f32_e32 v47, v48, v47
	v_sub_f32_e32 v48, v135, v49
	v_add_f32_e32 v5, v23, v5
	v_add_f32_e32 v4, v24, v4
	v_mul_f32_e32 v146, 0x3dbcf732, v89
	v_add_f32_e32 v46, v48, v46
	v_sub_f32_e32 v48, v141, v55
	v_add_f32_e32 v5, v25, v5
	v_add_f32_e32 v4, v26, v4
	;; [unrolled: 5-line block ×3, first 2 shown]
	v_add_f32_e32 v46, v48, v46
	v_sub_f32_e32 v48, v150, v65
	v_add_f32_e32 v5, v29, v5
	v_add_f32_e32 v4, v30, v4
	v_mul_f32_e32 v128, 0xbf59a7d5, v113
	v_add_f32_e32 v46, v48, v46
	v_sub_f32_e32 v48, v253, v71
	v_add_f32_e32 v5, v31, v5
	v_add_f32_e32 v4, v32, v4
	v_mul_f32_e32 v140, 0xbf7ba420, v120
	v_add_f32_e32 v46, v48, v46
	v_sub_f32_e32 v48, v128, v79
	v_add_f32_e32 v5, v33, v5
	v_add_f32_e32 v4, v34, v4
	;; [unrolled: 1-line block ×3, first 2 shown]
	v_sub_f32_e32 v48, v140, v86
	v_add_f32_e32 v5, v35, v5
	v_add_f32_e32 v0, v0, v4
	v_mul_lo_u16_e32 v4, 17, v107
	v_add_f32_e32 v46, v48, v46
	v_add_f32_e32 v1, v1, v5
	v_add_lshl_u32 v4, v52, v4, 3
	ds_write2_b64 v4, v[0:1], v[46:47] offset1:1
	ds_write2_b64 v4, v[56:57], v[74:75] offset0:2 offset1:3
	ds_write2_b64 v4, v[102:103], v[100:101] offset0:4 offset1:5
	;; [unrolled: 1-line block ×7, first 2 shown]
	ds_write_b64 v4, v[2:3] offset:128
.LBB0_7:
	s_or_b64 exec, exec, s[0:1]
	v_add_lshl_u32 v110, v52, v107, 3
	v_add_u32_e32 v0, 0xc00, v110
	s_waitcnt lgkmcnt(0)
	s_barrier
	ds_read2_b64 v[24:27], v110 offset1:68
	ds_read2_b64 v[20:23], v110 offset0:136 offset1:238
	ds_read2_b64 v[32:35], v0 offset0:92 offset1:160
	v_add_u32_e32 v0, 0x1000, v110
	ds_read2_b64 v[28:31], v0 offset0:100 offset1:202
	v_add_u32_e32 v0, 0x800, v110
	ds_read2_b64 v[44:47], v0 offset0:50 offset1:118
	v_add_u32_e32 v0, 0x1800, v110
	ds_read2_b64 v[48:51], v0 offset0:14 offset1:82
	v_cmp_gt_u16_e64 s[0:1], 34, v107
	s_and_saveexec_b64 s[2:3], s[0:1]
	s_cbranch_execz .LBB0_9
; %bb.8:
	v_add_u32_e32 v0, 0x600, v110
	ds_read2_b64 v[40:43], v0 offset0:12 offset1:250
	v_add_u32_e32 v0, 0x1500, v110
	ds_read2_b64 v[36:39], v0 offset0:8 offset1:246
.LBB0_9:
	s_or_b64 exec, exec, s[2:3]
	s_movk_i32 s4, 0xf1
	v_mul_lo_u16_sdwa v0, v107, s4 dst_sel:DWORD dst_unused:UNUSED_PAD src0_sel:BYTE_0 src1_sel:DWORD
	v_add_u16_e32 v53, 0xcc, v107
	v_lshrrev_b16_e32 v58, 12, v0
	v_mul_u32_u24_e32 v54, 0xf0f1, v53
	v_mul_lo_u16_e32 v0, 17, v58
	v_lshrrev_b32_e32 v112, 20, v54
	v_sub_u16_e32 v0, v107, v0
	v_mul_lo_u16_e32 v4, 17, v112
	v_and_b32_e32 v59, 0xff, v0
	v_sub_u16_e32 v113, v53, v4
	v_mad_u64_u32 v[0:1], s[2:3], v59, 24, s[8:9]
	v_add_u16_e32 v10, 0x44, v107
	v_mul_lo_u16_e32 v4, 24, v113
	v_mul_lo_u16_sdwa v11, v10, s4 dst_sel:DWORD dst_unused:UNUSED_PAD src0_sel:BYTE_0 src1_sel:DWORD
	v_mov_b32_e32 v5, s9
	v_add_co_u32_e64 v8, s[2:3], s8, v4
	v_addc_co_u32_e64 v9, s[2:3], 0, v5, s[2:3]
	v_lshrrev_b16_e32 v60, 12, v11
	global_load_dwordx2 v[73:74], v[8:9], off offset:16
	global_load_dwordx4 v[4:7], v[8:9], off
	v_mul_lo_u16_e32 v8, 17, v60
	v_sub_u16_e32 v8, v10, v8
	v_and_b32_e32 v61, 0xff, v8
	v_mad_u64_u32 v[56:57], s[2:3], v61, 24, s[8:9]
	v_add_u16_e32 v55, 0x88, v107
	global_load_dwordx2 v[79:80], v[0:1], off offset:16
	global_load_dwordx4 v[16:19], v[0:1], off
	global_load_dwordx4 v[12:15], v[56:57], off
	v_mul_lo_u16_sdwa v0, v55, s4 dst_sel:DWORD dst_unused:UNUSED_PAD src0_sel:BYTE_0 src1_sel:DWORD
	v_lshrrev_b16_e32 v62, 12, v0
	v_mul_lo_u16_e32 v0, 17, v62
	v_sub_u16_e32 v0, v55, v0
	v_and_b32_e32 v63, 0xff, v0
	v_mad_u64_u32 v[0:1], s[2:3], v63, 24, s[8:9]
	global_load_dwordx2 v[77:78], v[56:57], off offset:16
	global_load_dwordx4 v[8:11], v[0:1], off
	global_load_dwordx2 v[75:76], v[0:1], off offset:16
	s_load_dwordx4 s[4:7], s[6:7], 0x0
	s_waitcnt vmcnt(0) lgkmcnt(0)
	s_barrier
	s_movk_i32 s11, 0x44
	s_mov_b32 s10, 0xf0f1
	v_mul_f32_e32 v64, v39, v74
	v_mul_f32_e32 v0, v43, v5
	;; [unrolled: 1-line block ×5, first 2 shown]
	v_fma_f32 v0, v42, v4, -v0
	v_fmac_f32_e32 v1, v43, v4
	v_fma_f32 v56, v36, v6, -v56
	v_fmac_f32_e32 v57, v37, v6
	v_mul_f32_e32 v36, v23, v17
	v_mul_f32_e32 v37, v22, v17
	;; [unrolled: 1-line block ×6, first 2 shown]
	v_fma_f32 v22, v22, v16, -v36
	v_fmac_f32_e32 v37, v23, v16
	v_fma_f32 v23, v32, v18, -v42
	v_fmac_f32_e32 v43, v33, v18
	;; [unrolled: 2-line block ×3, first 2 shown]
	v_mul_f32_e32 v68, v44, v13
	v_mul_f32_e32 v70, v34, v15
	;; [unrolled: 1-line block ×5, first 2 shown]
	v_sub_f32_e32 v23, v24, v23
	v_sub_f32_e32 v33, v25, v43
	;; [unrolled: 1-line block ×4, first 2 shown]
	v_mul_f32_e32 v67, v45, v13
	v_mul_f32_e32 v69, v35, v15
	;; [unrolled: 1-line block ×5, first 2 shown]
	v_fmac_f32_e32 v68, v45, v12
	v_fmac_f32_e32 v70, v35, v14
	;; [unrolled: 1-line block ×3, first 2 shown]
	v_fma_f32 v42, v46, v8, -v82
	v_fmac_f32_e32 v85, v29, v10
	v_mul_f32_e32 v46, v38, v74
	v_fma_f32 v29, v25, 2.0, -v33
	v_fma_f32 v25, v37, 2.0, -v30
	v_sub_f32_e32 v30, v23, v30
	v_fma_f32 v36, v44, v12, -v67
	v_fma_f32 v34, v34, v14, -v69
	;; [unrolled: 1-line block ×4, first 2 shown]
	v_fmac_f32_e32 v46, v39, v73
	v_fma_f32 v28, v24, 2.0, -v23
	v_fma_f32 v22, v22, 2.0, -v31
	v_fma_f32 v32, v23, 2.0, -v30
	v_sub_f32_e32 v23, v27, v70
	v_sub_f32_e32 v39, v68, v81
	v_fma_f32 v64, v38, v73, -v64
	v_mul_f32_e32 v86, v51, v76
	v_mul_f32_e32 v87, v50, v76
	v_sub_f32_e32 v24, v28, v22
	v_sub_f32_e32 v22, v26, v34
	v_fma_f32 v37, v27, 2.0, -v23
	v_sub_f32_e32 v38, v36, v35
	v_fma_f32 v27, v68, 2.0, -v39
	v_fmac_f32_e32 v83, v47, v8
	v_fma_f32 v45, v50, v75, -v86
	v_fmac_f32_e32 v87, v51, v75
	v_fma_f32 v34, v26, 2.0, -v22
	v_fma_f32 v26, v36, 2.0, -v38
	v_sub_f32_e32 v27, v37, v27
	v_sub_f32_e32 v36, v22, v39
	v_fma_f32 v35, v37, 2.0, -v27
	v_add_f32_e32 v37, v23, v38
	v_fma_f32 v38, v22, 2.0, -v36
	v_sub_f32_e32 v22, v20, v44
	v_sub_f32_e32 v47, v42, v45
	;; [unrolled: 1-line block ×3, first 2 shown]
	v_fma_f32 v39, v23, 2.0, -v37
	v_sub_f32_e32 v23, v21, v85
	v_fma_f32 v20, v20, 2.0, -v22
	v_fma_f32 v42, v42, 2.0, -v47
	;; [unrolled: 1-line block ×3, first 2 shown]
	v_sub_f32_e32 v48, v22, v48
	v_fma_f32 v21, v21, 2.0, -v23
	v_sub_f32_e32 v42, v20, v42
	v_add_f32_e32 v49, v23, v47
	v_fma_f32 v50, v22, 2.0, -v48
	v_sub_f32_e32 v22, v41, v57
	v_sub_f32_e32 v43, v21, v43
	v_fma_f32 v44, v20, 2.0, -v42
	v_fma_f32 v51, v23, 2.0, -v49
	v_sub_f32_e32 v20, v40, v56
	v_fma_f32 v23, v41, 2.0, -v22
	v_sub_f32_e32 v41, v1, v46
	v_fma_f32 v45, v21, 2.0, -v43
	v_fma_f32 v21, v40, 2.0, -v20
	v_sub_f32_e32 v40, v0, v64
	v_fma_f32 v1, v1, 2.0, -v41
	v_fma_f32 v0, v0, 2.0, -v40
	v_sub_f32_e32 v47, v23, v1
	v_add_f32_e32 v1, v22, v40
	v_mul_u32_u24_e32 v40, 0x44, v58
	v_sub_f32_e32 v25, v29, v25
	v_add_f32_e32 v31, v33, v31
	v_add_u32_e32 v40, v40, v59
	v_fma_f32 v28, v28, 2.0, -v24
	v_fma_f32 v29, v29, 2.0, -v25
	;; [unrolled: 1-line block ×3, first 2 shown]
	v_add_lshl_u32 v114, v52, v40, 3
	ds_write2_b64 v114, v[28:29], v[32:33] offset1:17
	ds_write2_b64 v114, v[24:25], v[30:31] offset0:34 offset1:51
	v_mul_u32_u24_e32 v24, 0x44, v60
	v_add_u32_e32 v24, v24, v61
	v_add_lshl_u32 v115, v52, v24, 3
	v_mul_u32_u24_e32 v24, 0x44, v62
	v_sub_f32_e32 v26, v34, v26
	v_add_u32_e32 v24, v24, v63
	v_fma_f32 v34, v34, 2.0, -v26
	v_sub_f32_e32 v46, v21, v0
	v_sub_f32_e32 v0, v20, v41
	v_add_lshl_u32 v116, v52, v24, 3
	ds_write2_b64 v115, v[34:35], v[38:39] offset1:17
	ds_write2_b64 v115, v[26:27], v[36:37] offset0:34 offset1:51
	ds_write2_b64 v116, v[44:45], v[50:51] offset1:17
	ds_write2_b64 v116, v[42:43], v[48:49] offset0:34 offset1:51
	s_and_saveexec_b64 s[2:3], s[0:1]
	s_cbranch_execz .LBB0_11
; %bb.10:
	v_fma_f32 v24, v20, 2.0, -v0
	v_mad_legacy_u16 v20, v112, s11, v113
	v_fma_f32 v25, v22, 2.0, -v1
	v_fma_f32 v22, v23, 2.0, -v47
	;; [unrolled: 1-line block ×3, first 2 shown]
	v_add_lshl_u32 v20, v52, v20, 3
	ds_write2_b64 v20, v[21:22], v[24:25] offset1:17
	ds_write2_b64 v20, v[46:47], v[0:1] offset0:34 offset1:51
.LBB0_11:
	s_or_b64 exec, exec, s[2:3]
	v_add_u32_e32 v20, 0x110, v107
	v_add_u32_e32 v22, 0x198, v107
	s_movk_i32 s2, 0x79
	v_mul_u32_u24_sdwa v25, v20, s10 dst_sel:DWORD dst_unused:UNUSED_PAD src0_sel:WORD_0 src1_sel:DWORD
	v_mul_u32_u24_sdwa v26, v22, s10 dst_sel:DWORD dst_unused:UNUSED_PAD src0_sel:WORD_0 src1_sel:DWORD
	v_mul_lo_u16_sdwa v23, v55, s2 dst_sel:DWORD dst_unused:UNUSED_PAD src0_sel:BYTE_0 src1_sel:DWORD
	v_lshrrev_b32_e32 v24, 22, v54
	v_lshrrev_b32_e32 v25, 22, v25
	v_lshrrev_b32_e32 v26, 22, v26
	v_lshrrev_b16_e32 v23, 13, v23
	v_mul_lo_u16_e32 v24, 0x44, v24
	v_mul_lo_u16_e32 v25, 0x44, v25
	;; [unrolled: 1-line block ×3, first 2 shown]
	v_add_u32_e32 v21, 0x154, v107
	v_mul_lo_u16_e32 v23, 0x44, v23
	v_sub_u16_e32 v51, v53, v24
	v_sub_u16_e32 v53, v20, v25
	;; [unrolled: 1-line block ×4, first 2 shown]
	v_lshlrev_b32_e32 v24, 3, v51
	v_lshlrev_b32_e32 v20, 3, v53
	v_mul_u32_u24_sdwa v25, v21, s10 dst_sel:DWORD dst_unused:UNUSED_PAD src0_sel:WORD_0 src1_sel:DWORD
	v_lshlrev_b32_e32 v22, 3, v54
	s_waitcnt lgkmcnt(0)
	s_barrier
	v_and_b32_e32 v50, 0xff, v23
	global_load_dwordx2 v[81:82], v108, s[8:9] offset:408
	global_load_dwordx2 v[83:84], v22, s[8:9] offset:408
	;; [unrolled: 1-line block ×4, first 2 shown]
	v_lshrrev_b32_e32 v22, 22, v25
	v_lshlrev_b32_e32 v23, 3, v50
	v_mul_lo_u16_e32 v22, 0x44, v22
	global_load_dwordx2 v[91:92], v23, s[8:9] offset:408
	v_sub_u16_e32 v55, v21, v22
	v_lshlrev_b32_e32 v20, 3, v55
	global_load_dwordx2 v[85:86], v20, s[8:9] offset:408
	v_add_u32_e32 v56, 0xc00, v110
	ds_read2_b64 v[20:23], v110 offset1:68
	ds_read_b64 v[44:45], v110 offset:1088
	ds_read_b64 v[48:49], v110 offset:4896
	v_add_u32_e32 v57, 0x400, v110
	v_add_u32_e32 v66, 0x1000, v110
	;; [unrolled: 1-line block ×4, first 2 shown]
	ds_read2_b64 v[24:27], v56 offset0:92 offset1:160
	ds_read2_b64 v[28:31], v57 offset0:76 offset1:144
	;; [unrolled: 1-line block ×5, first 2 shown]
	v_add_lshl_u32 v117, v52, v50, 3
	s_waitcnt vmcnt(0) lgkmcnt(0)
	s_barrier
	v_add_lshl_u32 v118, v52, v51, 3
	v_add_lshl_u32 v119, v52, v53, 3
	;; [unrolled: 1-line block ×4, first 2 shown]
	s_movk_i32 s16, 0x1000
	v_add_u32_e32 v111, v109, v108
	v_lshl_add_u32 v122, v107, 3, v109
	v_mul_f32_e32 v61, v26, v82
	v_mul_f32_e32 v58, v25, v82
	;; [unrolled: 1-line block ×4, first 2 shown]
	v_fmac_f32_e32 v61, v27, v81
	v_fma_f32 v24, v24, v81, -v58
	v_fmac_f32_e32 v59, v25, v81
	v_fma_f32 v26, v26, v81, -v60
	v_sub_f32_e32 v27, v23, v61
	v_mul_f32_e32 v58, v43, v84
	v_mul_f32_e32 v60, v49, v92
	;; [unrolled: 1-line block ×3, first 2 shown]
	v_sub_f32_e32 v24, v20, v24
	v_sub_f32_e32 v25, v21, v59
	v_mul_f32_e32 v59, v42, v84
	v_mul_f32_e32 v63, v33, v90
	;; [unrolled: 1-line block ×3, first 2 shown]
	v_fma_f32 v58, v42, v83, -v58
	v_fma_f32 v42, v48, v91, -v60
	v_fmac_f32_e32 v61, v49, v91
	v_sub_f32_e32 v26, v22, v26
	v_fma_f32 v20, v20, 2.0, -v24
	v_fma_f32 v21, v21, 2.0, -v25
	v_mul_f32_e32 v65, v35, v88
	v_mul_f32_e32 v67, v34, v88
	;; [unrolled: 1-line block ×4, first 2 shown]
	v_fmac_f32_e32 v59, v43, v83
	v_fma_f32 v43, v32, v89, -v63
	v_fmac_f32_e32 v64, v33, v89
	v_sub_f32_e32 v32, v44, v42
	v_sub_f32_e32 v33, v45, v61
	v_fma_f32 v22, v22, 2.0, -v26
	v_fma_f32 v23, v23, 2.0, -v27
	v_fma_f32 v48, v34, v87, -v65
	v_fmac_f32_e32 v67, v35, v87
	v_fma_f32 v49, v40, v85, -v68
	v_fmac_f32_e32 v69, v41, v85
	v_fma_f32 v34, v44, 2.0, -v32
	v_fma_f32 v35, v45, 2.0, -v33
	v_sub_f32_e32 v40, v28, v43
	v_sub_f32_e32 v41, v29, v64
	ds_write2_b64 v110, v[20:21], v[24:25] offset1:68
	ds_write2_b64 v110, v[22:23], v[26:27] offset0:136 offset1:204
	v_add_u32_e32 v20, 0x800, v117
	v_fma_f32 v28, v28, 2.0, -v40
	v_fma_f32 v29, v29, 2.0, -v41
	ds_write2_b64 v20, v[34:35], v[32:33] offset0:16 offset1:84
	v_add_u32_e32 v20, 0x800, v118
	ds_write2_b64 v20, v[28:29], v[40:41] offset0:152 offset1:220
	v_mad_u64_u32 v[28:29], s[2:3], v107, 48, s[8:9]
	v_sub_f32_e32 v42, v30, v48
	v_sub_f32_e32 v43, v31, v67
	v_fma_f32 v30, v30, 2.0, -v42
	v_fma_f32 v31, v31, 2.0, -v43
	v_sub_f32_e32 v44, v36, v49
	v_sub_f32_e32 v45, v37, v69
	v_add_u32_e32 v20, 0x1000, v119
	v_fma_f32 v36, v36, 2.0, -v44
	v_fma_f32 v37, v37, 2.0, -v45
	v_sub_f32_e32 v48, v38, v58
	v_sub_f32_e32 v49, v39, v59
	ds_write2_b64 v20, v[30:31], v[42:43] offset0:32 offset1:100
	v_add_u32_e32 v20, 0x1000, v120
	v_fma_f32 v38, v38, 2.0, -v48
	v_fma_f32 v39, v39, 2.0, -v49
	ds_write2_b64 v20, v[36:37], v[44:45] offset0:168 offset1:236
	v_add_u32_e32 v20, 0x1800, v121
	v_add_co_u32_e64 v30, s[2:3], s16, v28
	ds_write2_b64 v20, v[38:39], v[48:49] offset0:48 offset1:116
	s_waitcnt lgkmcnt(0)
	s_barrier
	global_load_dwordx4 v[32:35], v[28:29], off offset:952
	global_load_dwordx4 v[24:27], v[28:29], off offset:968
	global_load_dwordx4 v[20:23], v[28:29], off offset:984
	v_addc_co_u32_e64 v31, s[2:3], 0, v29, s[2:3]
	global_load_dwordx4 v[40:43], v[30:31], off offset:120
	s_movk_i32 s2, 0x1078
	v_add_co_u32_e64 v44, s[2:3], s2, v28
	v_addc_co_u32_e64 v45, s[2:3], 0, v29, s[2:3]
	global_load_dwordx4 v[36:39], v[44:45], off offset:16
	global_load_dwordx4 v[28:31], v[44:45], off offset:32
	ds_read2_b64 v[58:61], v110 offset1:68
	ds_read2_b64 v[48:51], v57 offset0:76 offset1:144
	ds_read2_b64 v[52:55], v62 offset0:84 offset1:152
	ds_read_b64 v[44:45], v110 offset:1088
	ds_read2_b64 v[62:65], v56 offset0:92 offset1:160
	ds_read2_b64 v[66:69], v66 offset0:168 offset1:236
	;; [unrolled: 1-line block ×3, first 2 shown]
	ds_read_b64 v[56:57], v110 offset:4896
	s_mov_b32 s2, 0x3f5ff5aa
	s_mov_b32 s3, 0x3f3bfb3b
	s_mov_b32 s8, 0xbf3bfb3b
	s_mov_b32 s9, 0xbeae86e6
	s_waitcnt vmcnt(5) lgkmcnt(4)
	v_mul_f32_e32 v71, v44, v33
	v_mul_f32_e32 v97, v51, v35
	s_waitcnt vmcnt(4)
	v_mul_f32_e32 v99, v55, v25
	v_mul_f32_e32 v100, v54, v25
	s_waitcnt vmcnt(3) lgkmcnt(2)
	v_mul_f32_e32 v103, v67, v21
	v_mul_f32_e32 v70, v45, v33
	;; [unrolled: 1-line block ×3, first 2 shown]
	v_fmac_f32_e32 v71, v45, v32
	v_fma_f32 v45, v50, v34, -v97
	v_fma_f32 v50, v54, v24, -v99
	v_fmac_f32_e32 v100, v55, v24
	v_fma_f32 v54, v66, v20, -v103
	v_mul_f32_e32 v55, v66, v21
	s_waitcnt vmcnt(2)
	v_mul_f32_e32 v66, v49, v41
	v_fmac_f32_e32 v55, v67, v20
	v_fma_f32 v66, v48, v40, -v66
	v_mul_f32_e32 v67, v48, v41
	v_mul_f32_e32 v48, v53, v43
	v_fma_f32 v44, v44, v32, -v70
	v_fma_f32 v70, v52, v42, -v48
	s_waitcnt vmcnt(1)
	v_mul_f32_e32 v48, v63, v37
	v_mul_f32_e32 v101, v65, v27
	v_fma_f32 v99, v62, v36, -v48
	v_mul_f32_e32 v62, v62, v37
	s_waitcnt lgkmcnt(0)
	v_mul_f32_e32 v48, v57, v39
	v_mul_f32_e32 v102, v64, v27
	v_fmac_f32_e32 v98, v51, v34
	v_fma_f32 v51, v64, v26, -v101
	v_mul_f32_e32 v64, v94, v23
	v_fmac_f32_e32 v62, v63, v36
	v_fma_f32 v63, v56, v38, -v48
	s_waitcnt vmcnt(0)
	v_mul_f32_e32 v48, v69, v29
	v_fmac_f32_e32 v102, v65, v26
	v_fma_f32 v64, v93, v22, -v64
	v_mul_f32_e32 v65, v93, v23
	v_mul_f32_e32 v97, v52, v43
	v_fma_f32 v103, v68, v28, -v48
	v_mul_f32_e32 v68, v68, v29
	v_mul_f32_e32 v48, v96, v31
	v_fmac_f32_e32 v65, v94, v22
	v_fmac_f32_e32 v97, v53, v42
	;; [unrolled: 1-line block ×3, first 2 shown]
	v_fma_f32 v69, v95, v30, -v48
	v_add_f32_e32 v48, v44, v64
	v_add_f32_e32 v53, v45, v54
	v_fmac_f32_e32 v67, v49, v40
	v_mul_f32_e32 v101, v56, v39
	v_add_f32_e32 v49, v71, v65
	v_sub_f32_e32 v44, v44, v64
	v_add_f32_e32 v56, v98, v55
	v_sub_f32_e32 v45, v45, v54
	v_sub_f32_e32 v54, v98, v55
	v_add_f32_e32 v55, v50, v51
	v_sub_f32_e32 v50, v51, v50
	v_add_f32_e32 v64, v53, v48
	v_fmac_f32_e32 v101, v57, v38
	v_mul_f32_e32 v95, v95, v31
	v_sub_f32_e32 v52, v71, v65
	v_add_f32_e32 v57, v100, v102
	v_sub_f32_e32 v51, v102, v100
	v_add_f32_e32 v65, v56, v49
	v_sub_f32_e32 v71, v53, v48
	v_sub_f32_e32 v48, v48, v55
	;; [unrolled: 1-line block ×3, first 2 shown]
	v_add_f32_e32 v93, v50, v45
	v_add_f32_e32 v55, v55, v64
	v_fmac_f32_e32 v95, v96, v30
	v_sub_f32_e32 v96, v56, v49
	v_sub_f32_e32 v49, v49, v57
	;; [unrolled: 1-line block ×3, first 2 shown]
	v_add_f32_e32 v94, v51, v54
	v_sub_f32_e32 v98, v50, v45
	v_sub_f32_e32 v50, v44, v50
	v_sub_f32_e32 v45, v45, v44
	v_add_f32_e32 v57, v57, v65
	v_add_f32_e32 v44, v93, v44
	;; [unrolled: 1-line block ×3, first 2 shown]
	v_sub_f32_e32 v100, v51, v54
	v_sub_f32_e32 v51, v52, v51
	;; [unrolled: 1-line block ×3, first 2 shown]
	v_add_f32_e32 v52, v94, v52
	v_add_f32_e32 v94, v59, v57
	v_mov_b32_e32 v102, v93
	v_mul_f32_e32 v48, 0x3f4a47b2, v48
	v_mul_f32_e32 v49, 0x3f4a47b2, v49
	;; [unrolled: 1-line block ×7, first 2 shown]
	v_fmac_f32_e32 v102, 0xbf955555, v55
	v_mov_b32_e32 v55, v94
	v_mul_f32_e32 v98, 0x3f5ff5aa, v45
	v_fmac_f32_e32 v55, 0xbf955555, v57
	v_fma_f32 v57, v71, s3, -v58
	v_fma_f32 v58, v96, s3, -v59
	;; [unrolled: 1-line block ×3, first 2 shown]
	v_fmac_f32_e32 v48, 0x3d64c772, v53
	v_fma_f32 v53, v96, s8, -v49
	v_fmac_f32_e32 v49, 0x3d64c772, v56
	v_fma_f32 v45, v45, s2, -v64
	;; [unrolled: 2-line block ×3, first 2 shown]
	v_fma_f32 v54, v54, s2, -v65
	v_fmac_f32_e32 v65, 0x3eae86e6, v51
	v_fma_f32 v71, v50, s9, -v98
	v_add_f32_e32 v98, v49, v55
	v_add_f32_e32 v59, v59, v102
	v_fmac_f32_e32 v64, 0x3ee1c552, v44
	v_fmac_f32_e32 v56, 0x3ee1c552, v52
	v_add_f32_e32 v96, v48, v102
	v_add_f32_e32 v58, v58, v55
	v_fmac_f32_e32 v65, 0x3ee1c552, v52
	v_fmac_f32_e32 v45, 0x3ee1c552, v44
	v_fmac_f32_e32 v71, 0x3ee1c552, v44
	v_sub_f32_e32 v49, v98, v64
	v_add_f32_e32 v50, v56, v59
	v_sub_f32_e32 v56, v59, v56
	v_add_f32_e32 v59, v64, v98
	v_add_f32_e32 v44, v66, v69
	v_sub_f32_e32 v64, v66, v69
	v_add_f32_e32 v66, v70, v103
	v_add_f32_e32 v57, v57, v102
	;; [unrolled: 1-line block ×3, first 2 shown]
	v_fmac_f32_e32 v54, 0x3ee1c552, v52
	v_add_f32_e32 v48, v65, v96
	v_add_f32_e32 v53, v45, v58
	v_sub_f32_e32 v55, v58, v45
	v_sub_f32_e32 v58, v96, v65
	v_add_f32_e32 v45, v67, v95
	v_sub_f32_e32 v65, v67, v95
	v_add_f32_e32 v67, v97, v68
	;; [unrolled: 2-line block ×3, first 2 shown]
	v_add_f32_e32 v95, v66, v44
	v_sub_f32_e32 v51, v100, v71
	v_sub_f32_e32 v52, v57, v54
	v_add_f32_e32 v54, v54, v57
	v_add_f32_e32 v57, v71, v100
	v_sub_f32_e32 v68, v97, v68
	v_add_f32_e32 v71, v62, v101
	v_add_f32_e32 v96, v67, v45
	v_sub_f32_e32 v97, v66, v44
	v_sub_f32_e32 v44, v44, v70
	;; [unrolled: 1-line block ×3, first 2 shown]
	v_add_f32_e32 v70, v70, v95
	v_sub_f32_e32 v63, v63, v99
	v_sub_f32_e32 v62, v101, v62
	;; [unrolled: 1-line block ×5, first 2 shown]
	v_add_f32_e32 v71, v71, v96
	v_add_f32_e32 v60, v60, v70
	;; [unrolled: 1-line block ×4, first 2 shown]
	v_sub_f32_e32 v101, v63, v69
	v_sub_f32_e32 v102, v62, v68
	v_add_f32_e32 v61, v61, v71
	v_mov_b32_e32 v103, v60
	v_sub_f32_e32 v63, v64, v63
	v_sub_f32_e32 v62, v65, v62
	;; [unrolled: 1-line block ×4, first 2 shown]
	v_add_f32_e32 v64, v99, v64
	v_add_f32_e32 v65, v100, v65
	v_mul_f32_e32 v44, 0x3f4a47b2, v44
	v_mul_f32_e32 v45, 0x3f4a47b2, v45
	;; [unrolled: 1-line block ×6, first 2 shown]
	v_fmac_f32_e32 v103, 0xbf955555, v70
	v_mov_b32_e32 v70, v61
	v_mul_f32_e32 v101, 0x3f5ff5aa, v69
	v_mul_f32_e32 v102, 0x3f5ff5aa, v68
	v_fmac_f32_e32 v70, 0xbf955555, v71
	v_fma_f32 v71, v97, s3, -v95
	v_fma_f32 v95, v98, s3, -v96
	;; [unrolled: 1-line block ×3, first 2 shown]
	v_fmac_f32_e32 v44, 0x3d64c772, v66
	v_fma_f32 v66, v98, s8, -v45
	v_fmac_f32_e32 v45, 0x3d64c772, v67
	v_fma_f32 v69, v69, s2, -v99
	v_fmac_f32_e32 v99, 0x3eae86e6, v63
	v_fma_f32 v68, v68, s2, -v100
	v_fmac_f32_e32 v100, 0x3eae86e6, v62
	v_fma_f32 v97, v63, s9, -v101
	v_fma_f32 v98, v62, s9, -v102
	v_add_f32_e32 v44, v44, v103
	v_add_f32_e32 v45, v45, v70
	;; [unrolled: 1-line block ×3, first 2 shown]
	v_fmac_f32_e32 v99, 0x3ee1c552, v64
	v_fmac_f32_e32 v100, 0x3ee1c552, v65
	;; [unrolled: 1-line block ×3, first 2 shown]
	v_add_f32_e32 v71, v71, v103
	v_add_f32_e32 v96, v96, v103
	;; [unrolled: 1-line block ×3, first 2 shown]
	v_fmac_f32_e32 v68, 0x3ee1c552, v65
	v_fmac_f32_e32 v97, 0x3ee1c552, v64
	;; [unrolled: 1-line block ×3, first 2 shown]
	v_add_f32_e32 v62, v100, v44
	v_sub_f32_e32 v63, v45, v99
	v_add_f32_e32 v67, v69, v95
	v_sub_f32_e32 v69, v95, v69
	v_add_u32_e32 v95, 0x400, v111
	v_add_f32_e32 v64, v98, v96
	v_sub_f32_e32 v65, v101, v97
	v_sub_f32_e32 v66, v71, v68
	v_add_f32_e32 v68, v68, v71
	v_sub_f32_e32 v70, v96, v98
	v_add_f32_e32 v71, v97, v101
	;; [unrolled: 2-line block ×3, first 2 shown]
	ds_write_b64 v122, v[93:94]
	ds_write2_b64 v95, v[62:63], v[50:51] offset0:76 offset1:144
	v_add_u32_e32 v96, 0x800, v111
	v_add_u32_e32 v97, 0xc00, v111
	;; [unrolled: 1-line block ×4, first 2 shown]
	ds_write2_b64 v111, v[60:61], v[48:49] offset0:68 offset1:136
	ds_write2_b64 v96, v[64:65], v[52:53] offset0:84 offset1:152
	;; [unrolled: 1-line block ×5, first 2 shown]
	ds_write_b64 v111, v[44:45] offset:7072
	s_waitcnt lgkmcnt(0)
	s_barrier
	s_and_saveexec_b64 s[8:9], vcc
	s_cbranch_execz .LBB0_13
; %bb.12:
	s_add_u32 s10, s12, 0x1dc0
	s_addc_u32 s11, s13, 0
	global_load_dwordx2 v[99:100], v108, s[10:11]
	global_load_dwordx2 v[143:144], v108, s[10:11] offset:448
	v_mov_b32_e32 v101, s11
	v_add_co_u32_e64 v102, s[2:3], s10, v108
	v_addc_co_u32_e64 v103, s[2:3], 0, v101, s[2:3]
	global_load_dwordx2 v[145:146], v108, s[10:11] offset:896
	global_load_dwordx2 v[147:148], v108, s[10:11] offset:1344
	;; [unrolled: 1-line block ×8, first 2 shown]
	v_add_co_u32_e64 v101, s[2:3], s16, v102
	v_addc_co_u32_e64 v102, s[2:3], 0, v103, s[2:3]
	global_load_dwordx2 v[161:162], v[101:102], off offset:384
	global_load_dwordx2 v[163:164], v[101:102], off offset:832
	;; [unrolled: 1-line block ×6, first 2 shown]
	v_or_b32_e32 v101, 0x1c00, v108
	global_load_dwordx2 v[173:174], v101, s[10:11]
	ds_read_b64 v[103:104], v122
	s_waitcnt vmcnt(16) lgkmcnt(0)
	v_mul_f32_e32 v102, v104, v100
	v_mul_f32_e32 v101, v103, v100
	v_fma_f32 v100, v103, v99, -v102
	v_fmac_f32_e32 v101, v104, v99
	ds_write_b64 v122, v[100:101]
	ds_read2_b64 v[99:102], v111 offset0:56 offset1:112
	ds_read2_b64 v[103:106], v111 offset0:168 offset1:224
	;; [unrolled: 1-line block ×7, first 2 shown]
	s_waitcnt vmcnt(15) lgkmcnt(6)
	v_mul_f32_e32 v175, v100, v144
	v_mul_f32_e32 v176, v99, v144
	s_waitcnt vmcnt(14)
	v_mul_f32_e32 v177, v102, v146
	v_mul_f32_e32 v144, v101, v146
	s_waitcnt vmcnt(13) lgkmcnt(5)
	v_mul_f32_e32 v178, v104, v148
	v_mul_f32_e32 v146, v103, v148
	s_waitcnt vmcnt(12)
	v_mul_f32_e32 v179, v106, v150
	v_mul_f32_e32 v148, v105, v150
	s_waitcnt vmcnt(11) lgkmcnt(4)
	v_mul_f32_e32 v180, v124, v152
	v_mul_f32_e32 v150, v123, v152
	s_waitcnt vmcnt(10)
	v_mul_f32_e32 v181, v126, v154
	v_mul_f32_e32 v152, v125, v154
	s_waitcnt vmcnt(9) lgkmcnt(3)
	v_mul_f32_e32 v182, v128, v156
	v_mul_f32_e32 v154, v127, v156
	s_waitcnt vmcnt(8)
	v_mul_f32_e32 v183, v130, v158
	v_mul_f32_e32 v156, v129, v158
	s_waitcnt vmcnt(7) lgkmcnt(2)
	v_mul_f32_e32 v184, v132, v160
	v_mul_f32_e32 v158, v131, v160
	s_waitcnt vmcnt(6)
	v_mul_f32_e32 v185, v134, v162
	v_mul_f32_e32 v160, v133, v162
	s_waitcnt vmcnt(5) lgkmcnt(1)
	v_mul_f32_e32 v186, v136, v164
	v_mul_f32_e32 v162, v135, v164
	s_waitcnt vmcnt(4)
	v_mul_f32_e32 v164, v138, v166
	v_fma_f32 v175, v99, v143, -v175
	v_fmac_f32_e32 v176, v100, v143
	v_fma_f32 v143, v101, v145, -v177
	v_fmac_f32_e32 v144, v102, v145
	v_mul_f32_e32 v100, v137, v166
	v_fma_f32 v145, v103, v147, -v178
	v_fmac_f32_e32 v146, v104, v147
	v_fma_f32 v147, v105, v149, -v179
	v_fmac_f32_e32 v148, v106, v149
	;; [unrolled: 2-line block ×9, first 2 shown]
	v_fma_f32 v99, v137, v165, -v164
	ds_write2_b64 v111, v[175:176], v[143:144] offset0:56 offset1:112
	ds_write2_b64 v111, v[145:146], v[147:148] offset0:168 offset1:224
	ds_write2_b64 v96, v[149:150], v[151:152] offset0:24 offset1:80
	ds_write2_b64 v96, v[153:154], v[155:156] offset0:136 offset1:192
	ds_write2_b64 v97, v[157:158], v[159:160] offset0:120 offset1:176
	v_fmac_f32_e32 v100, v138, v165
	s_waitcnt vmcnt(3) lgkmcnt(5)
	v_mul_f32_e32 v96, v140, v168
	v_add_u32_e32 v104, 0x1800, v111
	ds_write2_b64 v98, v[161:162], v[99:100] offset0:104 offset1:160
	v_fma_f32 v100, v139, v167, -v96
	ds_read2_b64 v[96:99], v104 offset0:72 offset1:128
	v_mul_f32_e32 v101, v139, v168
	s_waitcnt vmcnt(2)
	v_mul_f32_e32 v102, v142, v170
	v_mul_f32_e32 v103, v141, v170
	v_fmac_f32_e32 v101, v140, v167
	v_fma_f32 v102, v141, v169, -v102
	v_fmac_f32_e32 v103, v142, v169
	ds_write2_b64 v95, v[100:101], v[102:103] offset0:88 offset1:144
	s_waitcnt vmcnt(1) lgkmcnt(1)
	v_mul_f32_e32 v95, v97, v172
	v_fma_f32 v95, v96, v171, -v95
	v_mul_f32_e32 v96, v96, v172
	v_fmac_f32_e32 v96, v97, v171
	s_waitcnt vmcnt(0)
	v_mul_f32_e32 v97, v99, v174
	v_fma_f32 v97, v98, v173, -v97
	v_mul_f32_e32 v98, v98, v174
	v_fmac_f32_e32 v98, v99, v173
	ds_write2_b64 v104, v[95:96], v[97:98] offset0:72 offset1:128
.LBB0_13:
	s_or_b64 exec, exec, s[8:9]
	s_waitcnt lgkmcnt(0)
	s_barrier
	s_and_saveexec_b64 s[2:3], vcc
	s_cbranch_execz .LBB0_15
; %bb.14:
	v_add_u32_e32 v0, 0x800, v122
	ds_read_b64 v[93:94], v122
	ds_read2_b64 v[48:51], v122 offset0:56 offset1:112
	ds_read2_b64 v[52:55], v122 offset0:168 offset1:224
	;; [unrolled: 1-line block ×4, first 2 shown]
	v_add_u32_e32 v0, 0xc00, v122
	ds_read2_b64 v[64:67], v0 offset0:120 offset1:176
	v_add_u32_e32 v0, 0x1000, v122
	ds_read2_b64 v[68:71], v0 offset0:104 offset1:160
	;; [unrolled: 2-line block ×4, first 2 shown]
.LBB0_15:
	s_or_b64 exec, exec, s[2:3]
	s_waitcnt lgkmcnt(0)
	v_sub_f32_e32 v129, v49, v3
	v_add_f32_e32 v123, v2, v48
	v_add_f32_e32 v132, v3, v49
	s_mov_b32 s8, 0x3f3d2fb0
	v_mul_f32_e32 v95, 0xbf2c7751, v129
	v_sub_f32_e32 v133, v51, v1
	v_mul_f32_e32 v139, 0x3f3d2fb0, v132
	v_fma_f32 v95, v123, s8, -v95
	s_mov_b32 s10, 0x3dbcf732
	v_add_f32_e32 v125, v0, v50
	v_add_f32_e32 v137, v1, v51
	v_mul_f32_e32 v103, 0xbf7ee86f, v133
	v_sub_f32_e32 v124, v48, v2
	v_add_f32_e32 v95, v93, v95
	v_mov_b32_e32 v96, v139
	v_mul_f32_e32 v147, 0x3dbcf732, v137
	v_fma_f32 v103, v125, s10, -v103
	v_fmac_f32_e32 v96, 0xbf2c7751, v124
	s_mov_b32 s9, 0x3ee437d1
	v_mul_f32_e32 v143, 0xbf65296c, v129
	v_sub_f32_e32 v126, v50, v0
	v_add_f32_e32 v95, v103, v95
	v_mov_b32_e32 v103, v147
	v_add_f32_e32 v96, v94, v96
	v_mul_f32_e32 v148, 0x3ee437d1, v132
	v_fma_f32 v97, v123, s9, -v143
	v_fmac_f32_e32 v103, 0xbf7ee86f, v126
	s_mov_b32 s16, 0xbf1a4643
	v_mul_f32_e32 v153, 0xbf4c4adb, v133
	v_add_f32_e32 v97, v93, v97
	v_mov_b32_e32 v98, v148
	v_add_f32_e32 v96, v103, v96
	v_mul_f32_e32 v157, 0xbf1a4643, v137
	v_fma_f32 v103, v125, s16, -v153
	v_fmac_f32_e32 v98, 0xbf65296c, v124
	v_mul_f32_e32 v155, 0xbf7ee86f, v129
	v_add_f32_e32 v97, v103, v97
	v_mov_b32_e32 v103, v157
	v_add_f32_e32 v98, v94, v98
	v_mul_f32_e32 v160, 0x3dbcf732, v132
	v_fma_f32 v99, v123, s10, -v155
	v_fmac_f32_e32 v103, 0xbf4c4adb, v126
	;; [unrolled: 7-line block ×3, first 2 shown]
	s_mov_b32 s11, 0xbe8c1d8e
	v_mul_f32_e32 v166, 0xbf763a35, v129
	v_add_f32_e32 v99, v103, v99
	v_mov_b32_e32 v103, v171
	v_add_f32_e32 v100, v94, v100
	v_mul_f32_e32 v173, 0xbe8c1d8e, v132
	v_fma_f32 v101, v123, s11, -v166
	v_fmac_f32_e32 v103, 0xbe3c28d5, v126
	s_mov_b32 s18, 0xbf59a7d5
	v_mul_f32_e32 v177, 0x3f06c442, v133
	v_add_f32_e32 v101, v93, v101
	v_mov_b32_e32 v102, v173
	v_add_f32_e32 v100, v103, v100
	v_mul_f32_e32 v183, 0xbf59a7d5, v137
	v_fma_f32 v103, v125, s18, -v177
	v_fmac_f32_e32 v102, 0xbf763a35, v124
	v_add_f32_e32 v101, v103, v101
	v_mov_b32_e32 v103, v183
	v_sub_f32_e32 v138, v53, v47
	v_add_f32_e32 v102, v94, v102
	v_fmac_f32_e32 v103, 0x3f06c442, v126
	v_add_f32_e32 v127, v46, v52
	v_add_f32_e32 v145, v47, v53
	v_mul_f32_e32 v149, 0xbf4c4adb, v138
	v_add_f32_e32 v102, v103, v102
	v_mul_f32_e32 v159, 0xbf1a4643, v145
	v_fma_f32 v103, v127, s16, -v149
	v_sub_f32_e32 v128, v52, v46
	v_add_f32_e32 v95, v103, v95
	v_mov_b32_e32 v103, v159
	v_fmac_f32_e32 v103, 0xbf4c4adb, v128
	v_mul_f32_e32 v163, 0x3e3c28d5, v138
	v_add_f32_e32 v96, v103, v96
	v_mul_f32_e32 v167, 0xbf7ba420, v145
	v_fma_f32 v103, v127, s17, -v163
	v_add_f32_e32 v97, v103, v97
	v_mov_b32_e32 v103, v167
	v_fmac_f32_e32 v103, 0x3e3c28d5, v128
	v_mul_f32_e32 v174, 0x3f763a35, v138
	v_add_f32_e32 v98, v103, v98
	v_mul_f32_e32 v181, 0xbe8c1d8e, v145
	v_fma_f32 v103, v127, s11, -v174
	;; [unrolled: 7-line block ×3, first 2 shown]
	v_add_f32_e32 v101, v103, v101
	v_mov_b32_e32 v103, v192
	v_fmac_f32_e32 v103, 0x3f2c7751, v128
	v_sub_f32_e32 v144, v55, v45
	v_add_f32_e32 v102, v103, v102
	v_add_f32_e32 v130, v44, v54
	;; [unrolled: 1-line block ×3, first 2 shown]
	v_mul_f32_e32 v103, 0xbe3c28d5, v144
	v_mul_f32_e32 v165, 0xbf7ba420, v152
	v_fma_f32 v103, v130, s17, -v103
	v_sub_f32_e32 v131, v54, v44
	v_add_f32_e32 v95, v103, v95
	v_mov_b32_e32 v103, v165
	v_fmac_f32_e32 v103, 0xbe3c28d5, v131
	v_mul_f32_e32 v172, 0x3f763a35, v144
	v_add_f32_e32 v96, v103, v96
	v_mul_f32_e32 v176, 0xbe8c1d8e, v152
	v_fma_f32 v103, v130, s11, -v172
	v_add_f32_e32 v97, v103, v97
	v_mov_b32_e32 v103, v176
	v_fmac_f32_e32 v103, 0x3f763a35, v131
	s_mov_b32 s19, 0x3f6eb680
	v_mul_f32_e32 v185, 0x3eb8f4ab, v144
	v_add_f32_e32 v98, v103, v98
	v_mul_f32_e32 v190, 0x3f6eb680, v152
	v_fma_f32 v103, v130, s19, -v185
	v_add_f32_e32 v99, v103, v99
	v_mov_b32_e32 v103, v190
	v_fmac_f32_e32 v103, 0x3eb8f4ab, v131
	v_mul_f32_e32 v196, 0xbf65296c, v144
	v_add_f32_e32 v100, v103, v100
	v_mul_f32_e32 v200, 0x3ee437d1, v152
	v_fma_f32 v103, v130, s9, -v196
	v_add_f32_e32 v101, v103, v101
	v_mov_b32_e32 v103, v200
	v_sub_f32_e32 v151, v57, v71
	v_fmac_f32_e32 v103, 0xbf65296c, v131
	v_add_f32_e32 v134, v70, v56
	v_add_f32_e32 v162, v71, v57
	v_mul_f32_e32 v169, 0x3f06c442, v151
	v_add_f32_e32 v102, v103, v102
	v_mul_f32_e32 v175, 0xbf59a7d5, v162
	v_fma_f32 v103, v134, s18, -v169
	v_sub_f32_e32 v136, v56, v70
	v_add_f32_e32 v95, v103, v95
	v_mov_b32_e32 v103, v175
	v_fmac_f32_e32 v103, 0x3f06c442, v136
	v_mul_f32_e32 v182, 0x3f2c7751, v151
	v_add_f32_e32 v96, v103, v96
	v_mul_f32_e32 v187, 0x3f3d2fb0, v162
	v_fma_f32 v103, v134, s8, -v182
	v_add_f32_e32 v97, v103, v97
	v_mov_b32_e32 v103, v187
	v_fmac_f32_e32 v103, 0x3f2c7751, v136
	v_mul_f32_e32 v194, 0xbf65296c, v151
	v_add_f32_e32 v98, v103, v98
	v_mul_f32_e32 v198, 0x3ee437d1, v162
	v_fma_f32 v103, v134, s9, -v194
	v_add_f32_e32 v99, v103, v99
	v_mov_b32_e32 v103, v198
	v_fmac_f32_e32 v103, 0xbf65296c, v136
	v_mul_f32_e32 v204, 0xbe3c28d5, v151
	v_add_f32_e32 v100, v103, v100
	v_mul_f32_e32 v207, 0xbf7ba420, v162
	v_fma_f32 v103, v134, s17, -v204
	v_add_f32_e32 v101, v103, v101
	v_mov_b32_e32 v103, v207
	v_sub_f32_e32 v161, v59, v69
	v_fmac_f32_e32 v103, 0xbe3c28d5, v136
	v_add_f32_e32 v140, v68, v58
	v_add_f32_e32 v170, v69, v59
	v_mul_f32_e32 v180, 0x3f763a35, v161
	v_add_f32_e32 v102, v103, v102
	v_mul_f32_e32 v184, 0xbe8c1d8e, v170
	v_fma_f32 v103, v140, s11, -v180
	v_sub_f32_e32 v142, v58, v68
	v_add_f32_e32 v95, v103, v95
	v_mov_b32_e32 v103, v184
	v_fmac_f32_e32 v103, 0x3f763a35, v142
	v_mul_f32_e32 v191, 0xbeb8f4ab, v161
	v_add_f32_e32 v96, v103, v96
	v_mul_f32_e32 v195, 0x3f6eb680, v170
	v_fma_f32 v103, v140, s19, -v191
	v_add_f32_e32 v97, v103, v97
	v_mov_b32_e32 v103, v195
	v_fmac_f32_e32 v103, 0xbeb8f4ab, v142
	;; [unrolled: 32-line block ×4, first 2 shown]
	v_mul_f32_e32 v213, 0x3f2c7751, v178
	v_add_f32_e32 v100, v97, v98
	v_mul_f32_e32 v215, 0x3f3d2fb0, v188
	v_fma_f32 v97, v154, s8, -v213
	v_add_f32_e32 v101, v97, v103
	v_mov_b32_e32 v97, v215
	v_mul_f32_e32 v218, 0xbf1a4643, v188
	v_fmac_f32_e32 v97, 0x3f2c7751, v158
	v_mul_f32_e32 v217, 0xbf4c4adb, v178
	v_mov_b32_e32 v98, v218
	v_add_f32_e32 v102, v97, v104
	v_fma_f32 v97, v154, s16, -v217
	v_fmac_f32_e32 v98, 0xbf4c4adb, v158
	v_add_f32_e32 v97, v97, v105
	v_add_f32_e32 v98, v98, v106
	s_barrier
	s_and_saveexec_b64 s[2:3], vcc
	s_cbranch_execz .LBB0_17
; %bb.16:
	v_mul_f32_e32 v225, 0xbf4c4adb, v124
	v_mov_b32_e32 v103, v225
	v_mul_f32_e32 v226, 0x3f763a35, v126
	v_fmac_f32_e32 v103, 0xbf1a4643, v132
	v_mov_b32_e32 v104, v226
	v_add_f32_e32 v103, v94, v103
	v_fmac_f32_e32 v104, 0xbe8c1d8e, v137
	v_mul_f32_e32 v252, 0xbeb8f4ab, v128
	v_add_f32_e32 v103, v104, v103
	v_mov_b32_e32 v104, v252
	v_fmac_f32_e32 v104, 0x3f6eb680, v145
	v_mul_f32_e32 v237, 0xbf06c442, v131
	v_add_f32_e32 v103, v104, v103
	v_mov_b32_e32 v104, v237
	v_fmac_f32_e32 v104, 0xbf59a7d5, v152
	buffer_store_dword v118, off, s[20:23], 0 offset:28 ; 4-byte Folded Spill
	v_mul_f32_e32 v118, 0x3f7ee86f, v136
	v_add_f32_e32 v103, v104, v103
	v_mov_b32_e32 v104, v118
	v_fmac_f32_e32 v104, 0x3dbcf732, v162
	v_mul_f32_e32 v245, 0xbf2c7751, v142
	v_add_f32_e32 v103, v104, v103
	v_mov_b32_e32 v104, v245
	v_fmac_f32_e32 v104, 0x3f3d2fb0, v170
	buffer_store_dword v117, off, s[20:23], 0 offset:24 ; 4-byte Folded Spill
	v_mul_f32_e32 v117, 0xbe3c28d5, v150
	v_add_f32_e32 v103, v104, v103
	v_mov_b32_e32 v104, v117
	v_fmac_f32_e32 v104, 0xbf7ba420, v179
	v_mul_f32_e32 v230, 0x3f65296c, v158
	v_add_f32_e32 v103, v104, v103
	v_mov_b32_e32 v104, v230
	v_fmac_f32_e32 v104, 0x3ee437d1, v188
	v_mul_f32_e32 v253, 0xbf4c4adb, v129
	v_add_f32_e32 v104, v104, v103
	v_fma_f32 v103, v123, s16, -v253
	v_mul_f32_e32 v238, 0x3f763a35, v133
	v_add_f32_e32 v103, v93, v103
	v_fma_f32 v105, v125, s11, -v238
	buffer_store_dword v119, off, s[20:23], 0 offset:32 ; 4-byte Folded Spill
	v_mul_f32_e32 v119, 0xbeb8f4ab, v138
	v_add_f32_e32 v103, v105, v103
	v_fma_f32 v105, v127, s19, -v119
	buffer_store_dword v115, off, s[20:23], 0 offset:16 ; 4-byte Folded Spill
	;; [unrolled: 4-line block ×3, first 2 shown]
	v_mul_f32_e32 v116, 0x3f7ee86f, v151
	v_add_f32_e32 v103, v105, v103
	v_fma_f32 v105, v134, s10, -v116
	v_mul_f32_e32 v135, 0xbf2c7751, v161
	v_add_f32_e32 v103, v105, v103
	v_fma_f32 v105, v140, s8, -v135
	;; [unrolled: 3-line block ×4, first 2 shown]
	v_mul_f32_e32 v223, 0xbf06c442, v124
	v_add_f32_e32 v103, v105, v103
	v_mov_b32_e32 v105, v223
	v_mul_f32_e32 v224, 0x3f65296c, v126
	v_fmac_f32_e32 v105, 0xbf59a7d5, v132
	v_mov_b32_e32 v106, v224
	v_add_f32_e32 v105, v94, v105
	v_fmac_f32_e32 v106, 0x3ee437d1, v137
	v_mul_f32_e32 v231, 0xbf7ee86f, v128
	v_add_f32_e32 v105, v106, v105
	v_mov_b32_e32 v106, v231
	v_fmac_f32_e32 v106, 0x3dbcf732, v145
	v_mul_f32_e32 v254, 0x3f4c4adb, v131
	v_add_f32_e32 v105, v106, v105
	v_mov_b32_e32 v106, v254
	;; [unrolled: 4-line block ×3, first 2 shown]
	buffer_store_dword v103, off, s[20:23], 0 offset:44 ; 4-byte Folded Spill
	s_nop 0
	buffer_store_dword v104, off, s[20:23], 0 offset:48 ; 4-byte Folded Spill
	v_fmac_f32_e32 v106, 0x3f6eb680, v162
	buffer_store_dword v120, off, s[20:23], 0 offset:36 ; 4-byte Folded Spill
	v_mul_f32_e32 v120, 0xbe3c28d5, v142
	v_add_f32_e32 v105, v106, v105
	v_mov_b32_e32 v106, v120
	v_fmac_f32_e32 v106, 0xbf7ba420, v170
	v_mul_f32_e32 v247, 0x3f2c7751, v150
	v_add_f32_e32 v105, v106, v105
	v_mov_b32_e32 v106, v247
	v_fmac_f32_e32 v106, 0x3f3d2fb0, v179
	;; [unrolled: 4-line block ×3, first 2 shown]
	v_mul_f32_e32 v232, 0xbf06c442, v129
	v_add_f32_e32 v106, v106, v105
	v_fma_f32 v105, v123, s18, -v232
	v_mul_f32_e32 v255, 0x3f65296c, v133
	v_add_f32_e32 v105, v93, v105
	v_fma_f32 v219, v125, s9, -v255
	;; [unrolled: 3-line block ×3, first 2 shown]
	buffer_store_dword v121, off, s[20:23], 0 offset:40 ; 4-byte Folded Spill
	v_mul_f32_e32 v121, 0x3f4c4adb, v144
	v_add_f32_e32 v105, v219, v105
	v_fma_f32 v219, v130, s16, -v121
	v_mul_f32_e32 v248, 0xbeb8f4ab, v151
	v_add_f32_e32 v105, v219, v105
	v_fma_f32 v219, v134, s19, -v248
	;; [unrolled: 3-line block ×4, first 2 shown]
	buffer_store_dword v109, off, s[20:23], 0 ; 4-byte Folded Spill
	v_mul_f32_e32 v109, 0xbf763a35, v178
	v_add_f32_e32 v105, v219, v105
	v_fma_f32 v219, v154, s11, -v109
	v_mul_f32_e32 v221, 0xbe3c28d5, v124
	v_add_f32_e32 v105, v219, v105
	v_mov_b32_e32 v219, v221
	v_mul_f32_e32 v222, 0x3eb8f4ab, v126
	v_fmac_f32_e32 v219, 0xbf7ba420, v132
	v_mov_b32_e32 v220, v222
	v_add_f32_e32 v219, v94, v219
	v_fmac_f32_e32 v220, 0x3f6eb680, v137
	v_mul_f32_e32 v241, 0xbf06c442, v128
	v_add_f32_e32 v219, v220, v219
	v_mov_b32_e32 v220, v241
	v_fmac_f32_e32 v220, 0xbf59a7d5, v145
	buffer_store_dword v114, off, s[20:23], 0 offset:12 ; 4-byte Folded Spill
	v_mul_f32_e32 v114, 0x3f2c7751, v131
	v_add_f32_e32 v219, v220, v219
	v_mov_b32_e32 v220, v114
	v_fmac_f32_e32 v220, 0x3f3d2fb0, v152
	v_mul_f32_e32 v249, 0xbf4c4adb, v136
	v_add_f32_e32 v219, v220, v219
	v_mov_b32_e32 v220, v249
	v_fmac_f32_e32 v220, 0xbf1a4643, v162
	;; [unrolled: 4-line block ×3, first 2 shown]
	v_mul_f32_e32 v234, 0xbf763a35, v150
	v_fma_f32 v104, v132, s17, -v221
	v_add_f32_e32 v219, v220, v219
	v_mov_b32_e32 v220, v234
	v_add_f32_e32 v104, v94, v104
	v_fma_f32 v221, v137, s19, -v222
	v_fmac_f32_e32 v220, 0xbe8c1d8e, v179
	buffer_store_dword v112, off, s[20:23], 0 offset:4 ; 4-byte Folded Spill
	v_mul_f32_e32 v112, 0x3f7ee86f, v158
	v_add_f32_e32 v104, v221, v104
	v_fma_f32 v221, v145, s18, -v241
	v_add_f32_e32 v219, v220, v219
	v_mov_b32_e32 v220, v112
	v_add_f32_e32 v104, v221, v104
	v_fma_f32 v114, v152, s8, -v114
	v_fmac_f32_e32 v220, 0x3dbcf732, v188
	v_mul_f32_e32 v242, 0xbe3c28d5, v129
	v_add_f32_e32 v104, v114, v104
	v_fma_f32 v221, v162, s16, -v249
	v_add_f32_e32 v220, v220, v219
	v_fma_f32 v219, v123, s17, -v242
	v_mul_f32_e32 v227, 0x3eb8f4ab, v133
	v_add_f32_e32 v104, v221, v104
	v_fma_f32 v221, v170, s9, -v244
	v_add_f32_e32 v219, v93, v219
	v_fma_f32 v228, v125, s19, -v227
	;; [unrolled: 2-line block ×3, first 2 shown]
	v_fmac_f32_e32 v242, 0xbf7ba420, v123
	v_add_f32_e32 v219, v228, v219
	v_mul_f32_e32 v228, 0xbf06c442, v138
	v_add_f32_e32 v104, v221, v104
	v_add_f32_e32 v221, v93, v242
	v_fmac_f32_e32 v227, 0x3f6eb680, v125
	buffer_store_dword v113, off, s[20:23], 0 offset:8 ; 4-byte Folded Spill
	v_fma_f32 v113, v127, s18, -v228
	v_mul_f32_e32 v250, 0x3f2c7751, v144
	v_add_f32_e32 v221, v227, v221
	v_fmac_f32_e32 v228, 0xbf59a7d5, v127
	v_add_f32_e32 v113, v113, v219
	v_fma_f32 v219, v130, s8, -v250
	v_mul_f32_e32 v235, 0xbf4c4adb, v151
	v_add_f32_e32 v221, v228, v221
	v_fmac_f32_e32 v250, 0x3f3d2fb0, v130
	v_add_f32_e32 v113, v219, v113
	v_fma_f32 v219, v134, s16, -v235
	v_mul_f32_e32 v229, 0x3f65296c, v161
	v_add_f32_e32 v221, v250, v221
	v_fmac_f32_e32 v235, 0xbf1a4643, v134
	v_add_f32_e32 v113, v219, v113
	v_fma_f32 v219, v140, s9, -v229
	v_mov_b32_e32 v156, v147
	v_mov_b32_e32 v147, v139
	v_mul_f32_e32 v139, 0xbf763a35, v168
	v_add_f32_e32 v221, v235, v221
	v_fmac_f32_e32 v229, 0x3ee437d1, v140
	v_add_f32_e32 v113, v219, v113
	v_fma_f32 v219, v146, s11, -v139
	v_mul_f32_e32 v141, 0x3f7ee86f, v178
	v_add_f32_e32 v221, v229, v221
	v_fmac_f32_e32 v139, 0xbe8c1d8e, v146
	v_fma_f32 v112, v188, s10, -v112
	v_add_f32_e32 v113, v219, v113
	v_fma_f32 v219, v154, s10, -v141
	v_add_f32_e32 v139, v139, v221
	v_add_f32_e32 v222, v112, v104
	v_fmac_f32_e32 v141, 0x3dbcf732, v154
	v_fma_f32 v112, v132, s18, -v223
	v_add_f32_e32 v221, v141, v139
	v_add_f32_e32 v112, v94, v112
	v_fma_f32 v139, v137, s9, -v224
	v_add_f32_e32 v112, v139, v112
	v_fma_f32 v139, v145, s10, -v231
	;; [unrolled: 2-line block ×7, first 2 shown]
	v_fmac_f32_e32 v232, 0xbf59a7d5, v123
	v_add_f32_e32 v224, v120, v112
	v_add_f32_e32 v112, v93, v232
	v_fmac_f32_e32 v255, 0x3ee437d1, v125
	v_add_f32_e32 v112, v255, v112
	v_fmac_f32_e32 v240, 0x3dbcf732, v127
	;; [unrolled: 2-line block ×7, first 2 shown]
	v_add_f32_e32 v223, v109, v112
	v_fma_f32 v109, v132, s16, -v225
	v_add_f32_e32 v109, v94, v109
	v_fma_f32 v112, v137, s11, -v226
	;; [unrolled: 2-line block ×8, first 2 shown]
	v_fmac_f32_e32 v253, 0xbf1a4643, v123
	v_add_f32_e32 v226, v112, v109
	v_add_f32_e32 v109, v93, v253
	v_fmac_f32_e32 v238, 0xbe8c1d8e, v125
	v_add_f32_e32 v109, v238, v109
	v_fmac_f32_e32 v119, 0x3f6eb680, v127
	;; [unrolled: 2-line block ×7, first 2 shown]
	v_add_f32_e32 v225, v243, v109
	v_mul_f32_e32 v109, 0xbf763a35, v124
	v_sub_f32_e32 v109, v173, v109
	v_mul_f32_e32 v112, 0x3f06c442, v126
	v_add_f32_e32 v109, v94, v109
	v_sub_f32_e32 v112, v183, v112
	v_add_f32_e32 v109, v112, v109
	v_mul_f32_e32 v112, 0x3f2c7751, v128
	v_sub_f32_e32 v112, v192, v112
	v_add_f32_e32 v109, v112, v109
	v_mul_f32_e32 v112, 0xbf65296c, v131
	;; [unrolled: 3-line block ×4, first 2 shown]
	v_mul_f32_e32 v244, 0xbeb8f4ab, v150
	v_sub_f32_e32 v112, v212, v112
	v_mul_f32_e32 v104, 0xbf4c4adb, v158
	v_add_f32_e32 v109, v112, v109
	v_sub_f32_e32 v112, v216, v244
	v_add_f32_e32 v109, v112, v109
	v_sub_f32_e32 v104, v218, v104
	v_add_f32_e32 v218, v104, v109
	v_mul_f32_e32 v104, 0xbe8c1d8e, v123
	v_add_f32_e32 v104, v104, v166
	v_mul_f32_e32 v109, 0xbf59a7d5, v125
	v_add_f32_e32 v104, v93, v104
	v_add_f32_e32 v109, v109, v177
	;; [unrolled: 1-line block ×3, first 2 shown]
	v_mul_f32_e32 v109, 0x3f3d2fb0, v127
	v_add_f32_e32 v109, v109, v186
	v_add_f32_e32 v104, v109, v104
	v_mul_f32_e32 v109, 0x3ee437d1, v130
	v_add_f32_e32 v109, v109, v196
	v_add_f32_e32 v104, v109, v104
	;; [unrolled: 3-line block ×3, first 2 shown]
	v_mul_f32_e32 v109, 0x3dbcf732, v140
	v_mul_f32_e32 v249, 0x3f6eb680, v146
	v_add_f32_e32 v109, v109, v210
	v_mul_f32_e32 v250, 0xbf1a4643, v154
	v_add_f32_e32 v104, v109, v104
	v_add_f32_e32 v109, v249, v214
	;; [unrolled: 1-line block ×5, first 2 shown]
	v_mul_f32_e32 v104, 0xbf7ee86f, v124
	v_sub_f32_e32 v104, v160, v104
	v_mul_f32_e32 v109, 0xbe3c28d5, v126
	v_add_f32_e32 v104, v94, v104
	v_sub_f32_e32 v109, v171, v109
	v_add_f32_e32 v104, v109, v104
	v_mul_f32_e32 v109, 0x3f763a35, v128
	v_sub_f32_e32 v109, v181, v109
	v_add_f32_e32 v104, v109, v104
	v_mul_f32_e32 v109, 0x3eb8f4ab, v131
	;; [unrolled: 3-line block ×4, first 2 shown]
	v_mul_f32_e32 v114, 0x3f4c4adb, v150
	v_sub_f32_e32 v109, v205, v109
	v_mul_f32_e32 v229, 0x3f2c7751, v158
	v_add_f32_e32 v104, v109, v104
	v_sub_f32_e32 v109, v211, v114
	v_add_f32_e32 v104, v109, v104
	v_sub_f32_e32 v109, v215, v229
	v_add_f32_e32 v186, v109, v104
	v_mul_f32_e32 v104, 0x3dbcf732, v123
	v_add_f32_e32 v104, v104, v155
	v_mul_f32_e32 v109, 0xbf7ba420, v125
	v_add_f32_e32 v104, v93, v104
	v_add_f32_e32 v109, v109, v164
	;; [unrolled: 1-line block ×3, first 2 shown]
	v_mul_f32_e32 v109, 0xbe8c1d8e, v127
	v_add_f32_e32 v109, v109, v174
	v_add_f32_e32 v104, v109, v104
	v_mul_f32_e32 v109, 0x3f6eb680, v130
	v_add_f32_e32 v109, v109, v185
	v_add_f32_e32 v104, v109, v104
	;; [unrolled: 3-line block ×3, first 2 shown]
	v_mul_f32_e32 v109, 0xbf59a7d5, v140
	v_mul_f32_e32 v241, 0xbf1a4643, v146
	v_add_f32_e32 v109, v109, v202
	v_mul_f32_e32 v235, 0x3f3d2fb0, v154
	v_add_f32_e32 v104, v109, v104
	v_add_f32_e32 v109, v241, v208
	v_add_f32_e32 v104, v109, v104
	v_add_f32_e32 v109, v235, v213
	v_add_f32_e32 v185, v109, v104
	v_mul_f32_e32 v104, 0xbf65296c, v124
	v_sub_f32_e32 v104, v148, v104
	v_mul_f32_e32 v109, 0xbf4c4adb, v126
	v_add_f32_e32 v104, v94, v104
	v_sub_f32_e32 v109, v157, v109
	v_add_f32_e32 v104, v109, v104
	v_mul_f32_e32 v109, 0x3e3c28d5, v128
	v_sub_f32_e32 v109, v167, v109
	v_add_f32_e32 v104, v109, v104
	v_mul_f32_e32 v109, 0x3f763a35, v131
	;; [unrolled: 3-line block ×4, first 2 shown]
	v_add_f32_e32 v219, v219, v113
	v_mov_b32_e32 v113, v149
	v_mov_b32_e32 v149, v143
	v_mul_f32_e32 v143, 0xbf7ee86f, v150
	v_sub_f32_e32 v109, v195, v109
	v_mul_f32_e32 v242, 0xbf06c442, v158
	v_add_f32_e32 v104, v109, v104
	v_sub_f32_e32 v109, v203, v143
	v_add_f32_e32 v104, v109, v104
	v_sub_f32_e32 v109, v209, v242
	v_add_f32_e32 v164, v109, v104
	v_mul_f32_e32 v104, 0x3ee437d1, v123
	v_add_f32_e32 v104, v104, v149
	v_mul_f32_e32 v109, 0xbf1a4643, v125
	v_add_f32_e32 v104, v93, v104
	v_add_f32_e32 v109, v109, v153
	;; [unrolled: 1-line block ×3, first 2 shown]
	v_mul_f32_e32 v109, 0xbf7ba420, v127
	v_add_f32_e32 v109, v109, v163
	v_add_f32_e32 v104, v109, v104
	v_mul_f32_e32 v109, 0xbe8c1d8e, v130
	v_add_f32_e32 v109, v109, v172
	v_add_f32_e32 v104, v109, v104
	;; [unrolled: 3-line block ×3, first 2 shown]
	v_mul_f32_e32 v109, 0x3f6eb680, v140
	v_mul_f32_e32 v103, 0x3dbcf732, v146
	v_add_f32_e32 v109, v109, v191
	v_mul_f32_e32 v228, 0xbf59a7d5, v154
	v_add_f32_e32 v104, v109, v104
	v_add_f32_e32 v103, v103, v199
	;; [unrolled: 1-line block ×5, first 2 shown]
	v_mul_f32_e32 v103, 0xbf2c7751, v124
	v_add_f32_e32 v49, v49, v94
	v_sub_f32_e32 v103, v147, v103
	v_mul_f32_e32 v104, 0xbf7ee86f, v126
	v_add_f32_e32 v49, v51, v49
	v_add_f32_e32 v103, v94, v103
	v_sub_f32_e32 v104, v156, v104
	v_add_f32_e32 v49, v53, v49
	v_add_f32_e32 v103, v104, v103
	v_mul_f32_e32 v104, 0xbf4c4adb, v128
	v_add_f32_e32 v49, v55, v49
	v_sub_f32_e32 v104, v159, v104
	v_add_f32_e32 v49, v57, v49
	v_add_f32_e32 v103, v104, v103
	v_mul_f32_e32 v104, 0xbe3c28d5, v131
	;; [unrolled: 5-line block ×5, first 2 shown]
	v_add_f32_e32 v49, v71, v49
	v_mul_f32_e32 v227, 0x3eb8f4ab, v158
	v_sub_f32_e32 v104, v193, v104
	v_add_f32_e32 v45, v45, v49
	v_add_f32_e32 v103, v104, v103
	v_sub_f32_e32 v104, v201, v227
	v_add_f32_e32 v45, v47, v45
	v_add_f32_e32 v148, v104, v103
	v_mul_f32_e32 v103, 0x3f3d2fb0, v123
	v_mul_f32_e32 v104, 0xbf2c7751, v129
	v_add_f32_e32 v1, v1, v45
	v_add_f32_e32 v103, v103, v104
	v_mul_f32_e32 v104, 0x3dbcf732, v125
	v_mul_f32_e32 v109, 0xbf7ee86f, v133
	v_add_f32_e32 v1, v3, v1
	v_add_f32_e32 v3, v48, v93
	;; [unrolled: 1-line block ×6, first 2 shown]
	v_mul_f32_e32 v104, 0xbf1a4643, v127
	v_add_f32_e32 v3, v52, v3
	v_add_f32_e32 v104, v104, v113
	;; [unrolled: 1-line block ×4, first 2 shown]
	v_mul_f32_e32 v104, 0xbf7ba420, v130
	v_mul_f32_e32 v109, 0xbe3c28d5, v144
	v_add_f32_e32 v3, v56, v3
	v_add_f32_e32 v104, v104, v109
	v_add_f32_e32 v3, v58, v3
	v_add_f32_e32 v103, v104, v103
	v_mul_f32_e32 v104, 0xbf59a7d5, v134
	v_add_f32_e32 v3, v60, v3
	v_add_f32_e32 v104, v104, v169
	v_add_f32_e32 v3, v62, v3
	v_add_f32_e32 v103, v104, v103
	;; [unrolled: 5-line block ×3, first 2 shown]
	v_mul_f32_e32 v104, 0x3ee437d1, v146
	v_add_f32_e32 v3, v68, v3
	v_mul_f32_e32 v234, 0x3f6eb680, v154
	v_add_f32_e32 v104, v104, v189
	v_add_f32_e32 v3, v70, v3
	;; [unrolled: 1-line block ×6, first 2 shown]
	v_mul_f32_e32 v103, 0x3f6eb680, v132
	v_add_f32_e32 v3, v46, v3
	v_mov_b32_e32 v104, v103
	v_mul_f32_e32 v109, 0x3f3d2fb0, v137
	v_add_f32_e32 v0, v0, v3
	v_fmac_f32_e32 v103, 0xbeb8f4ab, v124
	v_mov_b32_e32 v112, v109
	v_add_f32_e32 v0, v2, v0
	v_add_f32_e32 v2, v94, v103
	v_fmac_f32_e32 v109, 0xbf2c7751, v126
	v_add_f32_e32 v2, v109, v2
	buffer_load_dword v109, off, s[20:23], 0 ; 4-byte Folded Reload
	v_fmac_f32_e32 v104, 0x3eb8f4ab, v124
	v_add_f32_e32 v104, v94, v104
	v_fmac_f32_e32 v112, 0x3f2c7751, v126
	v_add_f32_e32 v104, v112, v104
	v_mul_f32_e32 v112, 0x3ee437d1, v145
	v_mov_b32_e32 v113, v112
	v_fmac_f32_e32 v113, 0x3f65296c, v128
	v_add_f32_e32 v104, v113, v104
	v_mul_f32_e32 v113, 0x3dbcf732, v152
	v_mov_b32_e32 v114, v113
	;; [unrolled: 4-line block ×7, first 2 shown]
	v_mul_f32_e32 v119, 0xbf2c7751, v133
	v_fmac_f32_e32 v118, 0x3f6eb680, v123
	v_mov_b32_e32 v120, v119
	v_add_f32_e32 v118, v93, v118
	v_fmac_f32_e32 v120, 0x3f3d2fb0, v125
	v_add_f32_e32 v118, v120, v118
	v_mul_f32_e32 v120, 0xbf65296c, v138
	v_mov_b32_e32 v121, v120
	v_fmac_f32_e32 v121, 0x3ee437d1, v127
	v_add_f32_e32 v118, v121, v118
	v_mul_f32_e32 v121, 0xbf7ee86f, v144
	v_fmac_f32_e32 v112, 0xbf65296c, v128
	v_mov_b32_e32 v129, v121
	v_add_f32_e32 v2, v112, v2
	buffer_load_dword v112, off, s[20:23], 0 offset:4 ; 4-byte Folded Reload
	v_fmac_f32_e32 v113, 0xbf7ee86f, v131
	v_fmac_f32_e32 v129, 0x3dbcf732, v130
	v_add_f32_e32 v2, v113, v2
	buffer_load_dword v113, off, s[20:23], 0 offset:8 ; 4-byte Folded Reload
	v_fmac_f32_e32 v114, 0xbf763a35, v136
	v_add_f32_e32 v118, v129, v118
	v_mul_f32_e32 v129, 0xbf763a35, v151
	v_add_f32_e32 v2, v114, v2
	buffer_load_dword v114, off, s[20:23], 0 offset:12 ; 4-byte Folded Reload
	v_fmac_f32_e32 v115, 0xbf4c4adb, v142
	v_mov_b32_e32 v132, v129
	v_add_f32_e32 v2, v115, v2
	buffer_load_dword v115, off, s[20:23], 0 offset:16 ; 4-byte Folded Reload
	v_fmac_f32_e32 v116, 0xbf06c442, v150
	v_fmac_f32_e32 v132, 0xbe8c1d8e, v134
	v_add_f32_e32 v2, v116, v2
	buffer_load_dword v116, off, s[20:23], 0 offset:20 ; 4-byte Folded Reload
	v_fmac_f32_e32 v117, 0xbe3c28d5, v158
	v_add_f32_e32 v118, v132, v118
	v_mul_f32_e32 v132, 0xbf4c4adb, v161
	v_add_f32_e32 v3, v117, v2
	buffer_load_dword v117, off, s[20:23], 0 offset:24 ; 4-byte Folded Reload
	v_fma_f32 v2, v123, s19, -v104
	v_mov_b32_e32 v133, v132
	v_add_f32_e32 v2, v93, v2
	v_fma_f32 v44, v125, s8, -v119
	v_fmac_f32_e32 v133, 0xbf1a4643, v140
	v_add_f32_e32 v2, v44, v2
	v_fma_f32 v44, v127, s9, -v120
	v_add_f32_e32 v118, v133, v118
	v_mul_f32_e32 v133, 0xbf06c442, v168
	v_add_f32_e32 v2, v44, v2
	v_fma_f32 v44, v130, s10, -v121
	v_mov_b32_e32 v135, v133
	v_add_f32_e32 v2, v44, v2
	v_fma_f32 v44, v134, s11, -v129
	v_fmac_f32_e32 v135, 0xbf59a7d5, v146
	v_add_f32_e32 v2, v44, v2
	v_fma_f32 v44, v140, s16, -v132
	v_add_f32_e32 v118, v135, v118
	v_mul_f32_e32 v135, 0xbe3c28d5, v178
	v_add_f32_e32 v2, v44, v2
	v_fma_f32 v44, v146, s18, -v133
	v_mov_b32_e32 v137, v135
	v_add_f32_e32 v2, v44, v2
	v_fma_f32 v44, v154, s17, -v135
	v_fmac_f32_e32 v137, 0xbf7ba420, v154
	v_add_f32_e32 v2, v44, v2
	v_mul_lo_u16_e32 v44, 17, v107
	v_add_f32_e32 v138, v137, v118
	buffer_load_dword v118, off, s[20:23], 0 offset:28 ; 4-byte Folded Reload
	s_waitcnt vmcnt(7)
	v_lshl_add_u32 v44, v44, 3, v109
	buffer_load_dword v119, off, s[20:23], 0 offset:32 ; 4-byte Folded Reload
	buffer_load_dword v120, off, s[20:23], 0 offset:36 ; 4-byte Folded Reload
	;; [unrolled: 1-line block ×3, first 2 shown]
	ds_write2_b64 v44, v[0:1], v[138:139] offset1:1
	ds_write2_b64 v44, v[147:148], v[163:164] offset0:2 offset1:3
	ds_write2_b64 v44, v[185:186], v[217:218] offset0:4 offset1:5
	;; [unrolled: 1-line block ×4, first 2 shown]
	buffer_load_dword v0, off, s[20:23], 0 offset:44 ; 4-byte Folded Reload
	buffer_load_dword v1, off, s[20:23], 0 offset:48 ; 4-byte Folded Reload
	s_waitcnt vmcnt(0)
	ds_write2_b64 v44, v[105:106], v[0:1] offset0:10 offset1:11
	ds_write2_b64 v44, v[97:98], v[101:102] offset0:12 offset1:13
	;; [unrolled: 1-line block ×3, first 2 shown]
	ds_write_b64 v44, v[2:3] offset:128
.LBB0_17:
	s_or_b64 exec, exec, s[2:3]
	v_add_u32_e32 v48, 0xc00, v110
	v_add_u32_e32 v52, 0x800, v110
	s_waitcnt lgkmcnt(0)
	s_barrier
	ds_read2_b64 v[44:47], v110 offset1:68
	ds_read2_b64 v[0:3], v110 offset0:136 offset1:238
	ds_read2_b64 v[60:63], v48 offset0:92 offset1:160
	v_add_u32_e32 v48, 0x1000, v110
	ds_read2_b64 v[56:59], v52 offset0:50 offset1:118
	v_add_u32_e32 v52, 0x1800, v110
	ds_read2_b64 v[48:51], v48 offset0:100 offset1:202
	ds_read2_b64 v[52:55], v52 offset0:14 offset1:82
	s_and_saveexec_b64 s[2:3], s[0:1]
	s_cbranch_execz .LBB0_19
; %bb.18:
	ds_read_b64 v[97:98], v110 offset:1632
	ds_read_b64 v[101:102], v110 offset:3536
	;; [unrolled: 1-line block ×4, first 2 shown]
.LBB0_19:
	s_or_b64 exec, exec, s[2:3]
	s_waitcnt lgkmcnt(4)
	v_mul_f32_e32 v65, v17, v3
	v_fmac_f32_e32 v65, v16, v2
	v_mul_f32_e32 v2, v17, v2
	v_fma_f32 v2, v16, v3, -v2
	s_waitcnt lgkmcnt(3)
	v_mul_f32_e32 v3, v19, v61
	v_mul_f32_e32 v16, v19, v60
	v_fmac_f32_e32 v3, v18, v60
	v_fma_f32 v16, v18, v61, -v16
	s_waitcnt lgkmcnt(1)
	v_mul_f32_e32 v17, v80, v51
	v_mul_f32_e32 v18, v80, v50
	;; [unrolled: 1-line block ×4, first 2 shown]
	v_fmac_f32_e32 v17, v79, v50
	v_fma_f32 v18, v79, v51, -v18
	v_fmac_f32_e32 v19, v12, v56
	v_fma_f32 v50, v12, v57, -v13
	v_mul_f32_e32 v51, v15, v63
	v_mul_f32_e32 v12, v15, v62
	v_fmac_f32_e32 v51, v14, v62
	v_fma_f32 v14, v14, v63, -v12
	s_waitcnt lgkmcnt(0)
	v_mul_f32_e32 v15, v78, v53
	v_mul_f32_e32 v12, v78, v52
	v_fmac_f32_e32 v15, v77, v52
	v_fma_f32 v52, v77, v53, -v12
	v_mul_f32_e32 v53, v9, v59
	v_mul_f32_e32 v9, v9, v58
	v_fmac_f32_e32 v53, v8, v58
	v_fma_f32 v56, v8, v59, -v9
	;; [unrolled: 4-line block ×3, first 2 shown]
	v_mul_f32_e32 v49, v76, v55
	v_mul_f32_e32 v8, v76, v54
	v_sub_f32_e32 v12, v44, v3
	v_sub_f32_e32 v13, v45, v16
	;; [unrolled: 1-line block ×4, first 2 shown]
	v_fmac_f32_e32 v49, v75, v54
	v_fma_f32 v54, v75, v55, -v8
	v_fma_f32 v8, v44, 2.0, -v12
	v_fma_f32 v9, v45, 2.0, -v13
	;; [unrolled: 1-line block ×4, first 2 shown]
	v_sub_f32_e32 v44, v46, v51
	v_sub_f32_e32 v18, v50, v52
	v_sub_f32_e32 v2, v8, v3
	v_sub_f32_e32 v3, v9, v16
	v_sub_f32_e32 v45, v47, v14
	v_fma_f32 v16, v46, 2.0, -v44
	v_sub_f32_e32 v46, v19, v15
	v_fma_f32 v15, v50, 2.0, -v18
	v_sub_f32_e32 v50, v0, v57
	v_sub_f32_e32 v51, v1, v48
	;; [unrolled: 1-line block ×4, first 2 shown]
	v_add_f32_e32 v10, v12, v10
	v_sub_f32_e32 v11, v13, v11
	v_fma_f32 v17, v47, 2.0, -v45
	v_fma_f32 v14, v19, 2.0, -v46
	v_sub_f32_e32 v19, v45, v46
	v_fma_f32 v46, v0, 2.0, -v50
	v_fma_f32 v47, v1, 2.0, -v51
	;; [unrolled: 1-line block ×4, first 2 shown]
	v_add_u32_e32 v64, 0x220, v111
	v_fma_f32 v8, v8, 2.0, -v2
	v_fma_f32 v9, v9, 2.0, -v3
	;; [unrolled: 1-line block ×4, first 2 shown]
	v_sub_f32_e32 v14, v16, v14
	v_sub_f32_e32 v15, v17, v15
	v_add_f32_e32 v18, v44, v18
	v_sub_f32_e32 v0, v46, v0
	v_sub_f32_e32 v1, v47, v1
	v_add_f32_e32 v48, v50, v48
	v_sub_f32_e32 v49, v51, v49
	v_fma_f32 v16, v16, 2.0, -v14
	v_fma_f32 v17, v17, 2.0, -v15
	;; [unrolled: 1-line block ×8, first 2 shown]
	s_barrier
	ds_write2_b64 v114, v[8:9], v[12:13] offset1:17
	ds_write2_b64 v114, v[2:3], v[10:11] offset0:34 offset1:51
	ds_write2_b64 v115, v[16:17], v[44:45] offset1:17
	ds_write2_b64 v115, v[14:15], v[18:19] offset0:34 offset1:51
	;; [unrolled: 2-line block ×3, first 2 shown]
	s_and_saveexec_b64 s[2:3], s[0:1]
	s_cbranch_execz .LBB0_21
; %bb.20:
	v_mul_f32_e32 v0, v7, v99
	v_fma_f32 v0, v6, v100, -v0
	v_sub_f32_e32 v8, v98, v0
	v_mul_f32_e32 v9, v5, v102
	v_mul_f32_e32 v0, v74, v96
	v_fmac_f32_e32 v9, v4, v101
	v_fmac_f32_e32 v0, v73, v95
	v_sub_f32_e32 v10, v9, v0
	v_mul_f32_e32 v0, v7, v100
	v_fmac_f32_e32 v0, v6, v99
	v_sub_f32_e32 v6, v97, v0
	v_mul_f32_e32 v0, v5, v101
	v_fma_f32 v4, v4, v102, -v0
	v_mul_f32_e32 v0, v74, v95
	v_fma_f32 v0, v73, v96, -v0
	v_sub_f32_e32 v5, v4, v0
	v_add_f32_e32 v0, v6, v5
	v_fma_f32 v7, v98, 2.0, -v8
	v_fma_f32 v4, v4, 2.0, -v5
	v_sub_f32_e32 v1, v8, v10
	v_fma_f32 v2, v6, 2.0, -v0
	v_sub_f32_e32 v5, v7, v4
	v_fma_f32 v6, v97, 2.0, -v6
	v_fma_f32 v4, v9, 2.0, -v10
	s_movk_i32 s0, 0x44
	v_fma_f32 v3, v8, 2.0, -v1
	v_sub_f32_e32 v4, v6, v4
	v_mad_legacy_u16 v8, v112, s0, v113
	v_fma_f32 v7, v7, 2.0, -v5
	v_fma_f32 v6, v6, 2.0, -v4
	v_lshl_add_u32 v8, v8, 3, v109
	ds_write2_b64 v8, v[6:7], v[2:3] offset1:17
	ds_write2_b64 v8, v[4:5], v[0:1] offset0:34 offset1:51
.LBB0_21:
	s_or_b64 exec, exec, s[2:3]
	v_add_u32_e32 v52, 0xc00, v110
	s_waitcnt lgkmcnt(0)
	s_barrier
	ds_read2_b64 v[0:3], v110 offset1:68
	ds_read2_b64 v[4:7], v52 offset0:92 offset1:160
	ds_read_b64 v[48:49], v110 offset:1088
	ds_read_b64 v[50:51], v110 offset:4896
	v_add_u32_e32 v54, 0x1000, v110
	ds_read2_b64 v[12:15], v54 offset0:168 offset1:236
	v_add_u32_e32 v56, 0x1800, v110
	s_waitcnt lgkmcnt(3)
	v_mul_f32_e32 v57, v82, v5
	ds_read2_b64 v[44:47], v56 offset0:48 offset1:116
	v_fmac_f32_e32 v57, v81, v4
	v_mul_f32_e32 v4, v82, v4
	v_fma_f32 v5, v81, v5, -v4
	v_mul_f32_e32 v4, v82, v6
	v_mul_f32_e32 v58, v82, v7
	v_fma_f32 v7, v81, v7, -v4
	s_waitcnt lgkmcnt(2)
	v_mul_f32_e32 v59, v92, v51
	v_mul_f32_e32 v4, v92, v50
	v_add_u32_e32 v53, 0x400, v110
	v_fmac_f32_e32 v59, v91, v50
	v_fma_f32 v50, v91, v51, -v4
	s_waitcnt lgkmcnt(1)
	v_mul_f32_e32 v4, v90, v12
	ds_read2_b64 v[8:11], v53 offset0:76 offset1:144
	v_fma_f32 v60, v89, v13, -v4
	v_mul_f32_e32 v4, v88, v14
	v_add_u32_e32 v55, 0x800, v110
	v_fma_f32 v62, v87, v15, -v4
	s_waitcnt lgkmcnt(1)
	v_mul_f32_e32 v4, v86, v44
	ds_read2_b64 v[16:19], v55 offset0:84 offset1:152
	v_fma_f32 v65, v85, v45, -v4
	v_mul_f32_e32 v4, v84, v46
	v_fmac_f32_e32 v58, v81, v6
	v_mul_f32_e32 v51, v90, v13
	v_fma_f32 v67, v83, v47, -v4
	v_sub_f32_e32 v4, v0, v57
	v_sub_f32_e32 v5, v1, v5
	v_fmac_f32_e32 v51, v89, v12
	v_mul_f32_e32 v61, v88, v15
	v_mul_f32_e32 v63, v86, v45
	v_fma_f32 v0, v0, 2.0, -v4
	v_fma_f32 v1, v1, 2.0, -v5
	v_sub_f32_e32 v6, v2, v58
	v_sub_f32_e32 v7, v3, v7
	;; [unrolled: 1-line block ×4, first 2 shown]
	v_fmac_f32_e32 v61, v87, v14
	v_fmac_f32_e32 v63, v85, v44
	v_mul_f32_e32 v66, v84, v47
	v_fma_f32 v2, v2, 2.0, -v6
	v_fma_f32 v3, v3, 2.0, -v7
	;; [unrolled: 1-line block ×4, first 2 shown]
	s_waitcnt lgkmcnt(1)
	v_sub_f32_e32 v44, v8, v51
	v_sub_f32_e32 v45, v9, v60
	s_waitcnt lgkmcnt(0)
	s_barrier
	ds_write2_b64 v110, v[0:1], v[4:5] offset1:68
	ds_write2_b64 v110, v[2:3], v[6:7] offset0:136 offset1:204
	v_add_u32_e32 v0, 0x800, v117
	v_fmac_f32_e32 v66, v83, v46
	v_fma_f32 v8, v8, 2.0, -v44
	v_fma_f32 v9, v9, 2.0, -v45
	v_sub_f32_e32 v46, v10, v61
	v_sub_f32_e32 v47, v11, v62
	ds_write2_b64 v0, v[14:15], v[12:13] offset0:16 offset1:84
	v_add_u32_e32 v0, 0x800, v118
	v_fma_f32 v10, v10, 2.0, -v46
	v_fma_f32 v11, v11, 2.0, -v47
	v_sub_f32_e32 v48, v16, v63
	v_sub_f32_e32 v49, v17, v65
	ds_write2_b64 v0, v[8:9], v[44:45] offset0:152 offset1:220
	v_add_u32_e32 v0, 0x1000, v119
	;; [unrolled: 6-line block ×3, first 2 shown]
	v_fma_f32 v18, v18, 2.0, -v50
	v_fma_f32 v19, v19, 2.0, -v51
	ds_write2_b64 v0, v[16:17], v[48:49] offset0:168 offset1:236
	v_add_u32_e32 v0, 0x1800, v121
	ds_write2_b64 v0, v[18:19], v[50:51] offset0:48 offset1:116
	s_waitcnt lgkmcnt(0)
	s_barrier
	ds_read2_b64 v[0:3], v110 offset1:68
	ds_read2_b64 v[4:7], v53 offset0:76 offset1:144
	ds_read2_b64 v[8:11], v55 offset0:84 offset1:152
	ds_read_b64 v[48:49], v110 offset:1088
	ds_read2_b64 v[12:15], v52 offset0:92 offset1:160
	ds_read2_b64 v[16:19], v54 offset0:168 offset1:236
	;; [unrolled: 1-line block ×3, first 2 shown]
	ds_read_b64 v[50:51], v110 offset:4896
	s_waitcnt lgkmcnt(4)
	v_mul_f32_e32 v52, v33, v49
	v_mul_f32_e32 v33, v33, v48
	v_fmac_f32_e32 v52, v32, v48
	v_fma_f32 v32, v32, v49, -v33
	v_mul_f32_e32 v33, v35, v7
	v_fmac_f32_e32 v33, v34, v6
	v_mul_f32_e32 v6, v35, v6
	v_fma_f32 v6, v34, v7, -v6
	v_mul_f32_e32 v7, v25, v11
	v_fmac_f32_e32 v7, v24, v10
	v_mul_f32_e32 v10, v25, v10
	v_fma_f32 v10, v24, v11, -v10
	s_waitcnt lgkmcnt(3)
	v_mul_f32_e32 v11, v27, v15
	v_fmac_f32_e32 v11, v26, v14
	v_mul_f32_e32 v14, v27, v14
	v_fma_f32 v14, v26, v15, -v14
	s_waitcnt lgkmcnt(2)
	v_mul_f32_e32 v15, v21, v17
	v_fmac_f32_e32 v15, v20, v16
	v_mul_f32_e32 v16, v21, v16
	v_mul_f32_e32 v21, v41, v5
	v_fma_f32 v16, v20, v17, -v16
	s_waitcnt lgkmcnt(1)
	v_mul_f32_e32 v17, v23, v45
	v_mul_f32_e32 v20, v23, v44
	v_fmac_f32_e32 v21, v40, v4
	v_mul_f32_e32 v4, v41, v4
	v_fmac_f32_e32 v17, v22, v44
	v_fma_f32 v20, v22, v45, -v20
	v_fma_f32 v22, v40, v5, -v4
	v_mul_f32_e32 v4, v43, v8
	v_fma_f32 v24, v42, v9, -v4
	v_mul_f32_e32 v4, v37, v12
	v_fma_f32 v26, v36, v13, -v4
	s_waitcnt lgkmcnt(0)
	v_mul_f32_e32 v4, v39, v50
	v_fma_f32 v34, v38, v51, -v4
	v_mul_f32_e32 v35, v29, v19
	v_mul_f32_e32 v4, v29, v18
	;; [unrolled: 1-line block ×3, first 2 shown]
	v_fmac_f32_e32 v35, v28, v18
	v_fma_f32 v18, v28, v19, -v4
	v_mul_f32_e32 v4, v31, v46
	v_fmac_f32_e32 v25, v36, v12
	v_fma_f32 v28, v30, v47, -v4
	v_add_f32_e32 v4, v52, v17
	v_add_f32_e32 v12, v33, v15
	v_mul_f32_e32 v23, v43, v9
	v_add_f32_e32 v5, v32, v20
	v_add_f32_e32 v13, v6, v16
	v_sub_f32_e32 v6, v6, v16
	v_add_f32_e32 v16, v7, v11
	v_sub_f32_e32 v7, v11, v7
	v_add_f32_e32 v11, v12, v4
	v_fmac_f32_e32 v23, v42, v8
	v_sub_f32_e32 v8, v52, v17
	v_add_f32_e32 v17, v10, v14
	v_sub_f32_e32 v10, v14, v10
	v_add_f32_e32 v14, v13, v5
	v_add_f32_e32 v11, v16, v11
	v_sub_f32_e32 v9, v32, v20
	v_add_f32_e32 v14, v17, v14
	v_add_f32_e32 v0, v0, v11
	v_mul_f32_e32 v19, v31, v47
	v_sub_f32_e32 v15, v33, v15
	v_sub_f32_e32 v20, v12, v4
	;; [unrolled: 1-line block ×7, first 2 shown]
	v_add_f32_e32 v31, v10, v6
	v_sub_f32_e32 v33, v10, v6
	v_sub_f32_e32 v6, v6, v9
	v_add_f32_e32 v1, v1, v14
	v_mov_b32_e32 v36, v0
	v_fmac_f32_e32 v19, v30, v46
	v_add_f32_e32 v30, v7, v15
	v_sub_f32_e32 v32, v7, v15
	v_sub_f32_e32 v10, v9, v10
	;; [unrolled: 1-line block ×3, first 2 shown]
	v_add_f32_e32 v9, v31, v9
	v_mul_f32_e32 v4, 0x3f4a47b2, v4
	v_mul_f32_e32 v5, 0x3f4a47b2, v5
	;; [unrolled: 1-line block ×6, first 2 shown]
	v_fmac_f32_e32 v36, 0xbf955555, v11
	v_mov_b32_e32 v11, v1
	s_mov_b32 s1, 0x3f3bfb3b
	s_mov_b32 s3, 0xbf3bfb3b
	;; [unrolled: 1-line block ×3, first 2 shown]
	v_sub_f32_e32 v7, v8, v7
	v_add_f32_e32 v8, v30, v8
	v_mul_f32_e32 v30, 0x3f08b237, v32
	s_mov_b32 s0, 0xbf5ff5aa
	v_mul_f32_e32 v32, 0xbf5ff5aa, v15
	v_fmac_f32_e32 v11, 0xbf955555, v14
	v_fma_f32 v14, v20, s1, -v16
	v_fma_f32 v16, v29, s1, -v17
	;; [unrolled: 1-line block ×3, first 2 shown]
	v_fmac_f32_e32 v4, 0x3d64c772, v12
	v_fma_f32 v12, v29, s3, -v5
	v_fma_f32 v29, v10, s8, -v33
	v_mul_f32_e32 v27, v39, v51
	v_fmac_f32_e32 v5, 0x3d64c772, v13
	v_fma_f32 v13, v15, s0, -v30
	v_fma_f32 v15, v6, s0, -v31
	v_fmac_f32_e32 v31, 0xbeae86e6, v10
	v_fma_f32 v20, v7, s8, -v32
	v_add_f32_e32 v10, v14, v36
	v_add_f32_e32 v14, v16, v11
	;; [unrolled: 1-line block ×3, first 2 shown]
	v_fmac_f32_e32 v29, 0xbee1c552, v9
	v_fmac_f32_e32 v27, v38, v50
	;; [unrolled: 1-line block ×3, first 2 shown]
	v_add_f32_e32 v17, v12, v11
	v_fmac_f32_e32 v13, 0xbee1c552, v8
	v_fmac_f32_e32 v20, 0xbee1c552, v8
	v_add_f32_e32 v6, v29, v16
	v_sub_f32_e32 v12, v16, v29
	v_add_f32_e32 v16, v21, v19
	v_sub_f32_e32 v19, v21, v19
	v_add_f32_e32 v21, v23, v35
	v_add_f32_e32 v33, v5, v11
	v_fmac_f32_e32 v30, 0xbee1c552, v8
	v_fmac_f32_e32 v31, 0xbee1c552, v9
	v_fmac_f32_e32 v15, 0xbee1c552, v9
	v_sub_f32_e32 v7, v17, v20
	v_add_f32_e32 v9, v13, v14
	v_sub_f32_e32 v11, v14, v13
	v_add_f32_e32 v13, v20, v17
	v_add_f32_e32 v17, v22, v28
	v_sub_f32_e32 v20, v22, v28
	v_add_f32_e32 v22, v24, v18
	v_sub_f32_e32 v18, v24, v18
	;; [unrolled: 2-line block ×4, first 2 shown]
	v_sub_f32_e32 v8, v10, v15
	v_add_f32_e32 v10, v15, v10
	v_add_f32_e32 v15, v30, v33
	;; [unrolled: 1-line block ×4, first 2 shown]
	v_sub_f32_e32 v30, v21, v16
	v_sub_f32_e32 v16, v16, v24
	;; [unrolled: 1-line block ×3, first 2 shown]
	v_add_f32_e32 v24, v24, v27
	v_add_f32_e32 v32, v4, v36
	v_sub_f32_e32 v23, v23, v35
	v_sub_f32_e32 v26, v34, v26
	v_add_f32_e32 v27, v28, v29
	v_add_f32_e32 v2, v2, v24
	;; [unrolled: 1-line block ×3, first 2 shown]
	v_sub_f32_e32 v14, v32, v31
	v_sub_f32_e32 v31, v22, v17
	;; [unrolled: 1-line block ×4, first 2 shown]
	v_add_f32_e32 v32, v25, v23
	v_add_f32_e32 v33, v26, v18
	v_sub_f32_e32 v34, v25, v23
	v_sub_f32_e32 v35, v26, v18
	;; [unrolled: 1-line block ×4, first 2 shown]
	v_add_f32_e32 v3, v3, v27
	v_mov_b32_e32 v36, v2
	v_sub_f32_e32 v25, v19, v25
	v_sub_f32_e32 v26, v20, v26
	v_add_f32_e32 v19, v32, v19
	v_add_f32_e32 v20, v33, v20
	v_mul_f32_e32 v16, 0x3f4a47b2, v16
	v_mul_f32_e32 v17, 0x3f4a47b2, v17
	;; [unrolled: 1-line block ×8, first 2 shown]
	v_fmac_f32_e32 v36, 0xbf955555, v24
	v_mov_b32_e32 v24, v3
	v_fmac_f32_e32 v24, 0xbf955555, v27
	v_fma_f32 v27, v30, s1, -v28
	v_fma_f32 v28, v31, s1, -v29
	;; [unrolled: 1-line block ×3, first 2 shown]
	v_fmac_f32_e32 v16, 0x3d64c772, v21
	v_fma_f32 v21, v31, s3, -v17
	v_fmac_f32_e32 v17, 0x3d64c772, v22
	v_fma_f32 v23, v23, s0, -v32
	v_fmac_f32_e32 v32, 0xbeae86e6, v25
	v_fma_f32 v22, v18, s0, -v33
	v_fmac_f32_e32 v33, 0xbeae86e6, v26
	v_fma_f32 v25, v25, s8, -v34
	v_fma_f32 v26, v26, s8, -v35
	v_add_f32_e32 v30, v16, v36
	v_add_f32_e32 v31, v17, v24
	;; [unrolled: 1-line block ×4, first 2 shown]
	v_fmac_f32_e32 v32, 0xbee1c552, v19
	v_fmac_f32_e32 v33, 0xbee1c552, v20
	;; [unrolled: 1-line block ×4, first 2 shown]
	ds_write_b64 v122, v[0:1]
	v_add_u32_e32 v1, 0x800, v111
	v_add_u32_e32 v0, 0x1000, v111
	v_add_f32_e32 v27, v27, v36
	v_add_f32_e32 v28, v28, v24
	v_fmac_f32_e32 v23, 0xbee1c552, v19
	v_fmac_f32_e32 v22, 0xbee1c552, v20
	v_add_f32_e32 v16, v33, v30
	v_sub_f32_e32 v17, v31, v32
	v_add_f32_e32 v18, v26, v29
	v_sub_f32_e32 v19, v34, v25
	ds_write2_b64 v1, v[6:7], v[8:9] offset0:16 offset1:152
	ds_write2_b64 v0, v[10:11], v[12:13] offset0:32 offset1:168
	ds_write_b64 v111, v[14:15] offset:6528
	ds_write2_b64 v111, v[2:3], v[4:5] offset0:68 offset1:136
	v_add_u32_e32 v2, 0x400, v64
	v_sub_f32_e32 v20, v27, v22
	v_add_f32_e32 v21, v23, v28
	v_add_f32_e32 v22, v22, v27
	v_sub_f32_e32 v23, v28, v23
	ds_write2_b64 v2, v[16:17], v[18:19] offset0:8 offset1:144
	v_add_u32_e32 v2, 0xc00, v64
	s_movk_i32 s2, 0x1000
	v_sub_f32_e32 v24, v29, v26
	v_add_f32_e32 v25, v25, v34
	v_sub_f32_e32 v26, v30, v33
	v_add_f32_e32 v27, v32, v31
	ds_write2_b64 v2, v[20:21], v[22:23] offset0:24 offset1:160
	v_add_u32_e32 v2, 0x1400, v64
	ds_write2_b64 v2, v[24:25], v[26:27] offset0:40 offset1:176
	s_waitcnt lgkmcnt(0)
	s_barrier
	s_and_b64 exec, exec, vcc
	s_cbranch_execz .LBB0_23
; %bb.22:
	global_load_dwordx2 v[2:3], v108, s[12:13]
	ds_read_b64 v[6:7], v122
	v_mad_u64_u32 v[4:5], s[0:1], s6, v72, 0
	v_mad_u64_u32 v[8:9], s[0:1], s4, v107, 0
	s_waitcnt lgkmcnt(0)
	v_mad_u64_u32 v[10:11], s[6:7], s7, v72, v[5:6]
	s_mov_b32 s0, 0x1135c811
	s_mov_b32 s1, 0x3f5135c8
	v_mad_u64_u32 v[11:12], s[6:7], s5, v107, v[9:10]
	v_mov_b32_e32 v13, s15
	s_mul_i32 s6, s5, 0x1c0
	v_mov_b32_e32 v9, v11
	v_lshlrev_b64 v[8:9], 3, v[8:9]
	s_mul_hi_u32 s7, s4, 0x1c0
	s_mul_i32 s3, s4, 0x1c0
	s_add_i32 s6, s7, s6
	s_mul_i32 s7, s5, 0x380
	s_waitcnt vmcnt(0)
	v_mul_f32_e32 v5, v7, v3
	v_mul_f32_e32 v3, v6, v3
	v_fmac_f32_e32 v5, v6, v2
	v_fma_f32 v6, v2, v7, -v3
	v_cvt_f64_f32_e32 v[2:3], v5
	v_cvt_f64_f32_e32 v[6:7], v6
	v_mov_b32_e32 v5, v10
	v_lshlrev_b64 v[4:5], 3, v[4:5]
	v_mul_f64 v[2:3], v[2:3], s[0:1]
	v_mul_f64 v[6:7], v[6:7], s[0:1]
	v_add_co_u32_e32 v11, vcc, s14, v4
	v_addc_co_u32_e32 v12, vcc, v13, v5, vcc
	v_cvt_f32_f64_e32 v2, v[2:3]
	v_cvt_f32_f64_e32 v3, v[6:7]
	v_add_co_u32_e32 v6, vcc, v11, v8
	v_addc_co_u32_e32 v7, vcc, v12, v9, vcc
	global_store_dwordx2 v[6:7], v[2:3], off
	global_load_dwordx2 v[8:9], v108, s[12:13] offset:448
	ds_read2_b64 v[2:5], v111 offset0:56 offset1:112
	v_add_co_u32_e32 v6, vcc, s3, v6
	s_waitcnt vmcnt(0) lgkmcnt(0)
	v_mul_f32_e32 v10, v3, v9
	v_mul_f32_e32 v9, v2, v9
	v_fmac_f32_e32 v10, v2, v8
	v_fma_f32 v8, v8, v3, -v9
	v_cvt_f64_f32_e32 v[2:3], v10
	v_cvt_f64_f32_e32 v[8:9], v8
	v_mov_b32_e32 v10, s6
	v_addc_co_u32_e32 v7, vcc, v7, v10, vcc
	v_mul_f64 v[2:3], v[2:3], s[0:1]
	v_mul_f64 v[8:9], v[8:9], s[0:1]
	v_cvt_f32_f64_e32 v2, v[2:3]
	v_cvt_f32_f64_e32 v3, v[8:9]
	global_store_dwordx2 v[6:7], v[2:3], off
	global_load_dwordx2 v[2:3], v108, s[12:13] offset:896
	v_add_co_u32_e32 v6, vcc, s3, v6
	s_waitcnt vmcnt(0)
	v_mul_f32_e32 v8, v5, v3
	v_mul_f32_e32 v3, v4, v3
	v_fmac_f32_e32 v8, v4, v2
	v_fma_f32 v4, v2, v5, -v3
	v_cvt_f64_f32_e32 v[2:3], v8
	v_cvt_f64_f32_e32 v[4:5], v4
	v_mov_b32_e32 v8, s6
	v_addc_co_u32_e32 v7, vcc, v7, v8, vcc
	v_mul_f64 v[2:3], v[2:3], s[0:1]
	v_mul_f64 v[4:5], v[4:5], s[0:1]
	v_cvt_f32_f64_e32 v2, v[2:3]
	v_cvt_f32_f64_e32 v3, v[4:5]
	global_store_dwordx2 v[6:7], v[2:3], off
	global_load_dwordx2 v[8:9], v108, s[12:13] offset:1344
	ds_read2_b64 v[2:5], v111 offset0:168 offset1:224
	v_add_co_u32_e32 v6, vcc, s3, v6
	s_waitcnt vmcnt(0) lgkmcnt(0)
	v_mul_f32_e32 v10, v3, v9
	v_mul_f32_e32 v9, v2, v9
	v_fmac_f32_e32 v10, v2, v8
	v_fma_f32 v8, v8, v3, -v9
	v_cvt_f64_f32_e32 v[2:3], v10
	v_cvt_f64_f32_e32 v[8:9], v8
	v_mov_b32_e32 v10, s6
	v_addc_co_u32_e32 v7, vcc, v7, v10, vcc
	v_mul_f64 v[2:3], v[2:3], s[0:1]
	v_mul_f64 v[8:9], v[8:9], s[0:1]
	v_cvt_f32_f64_e32 v2, v[2:3]
	v_cvt_f32_f64_e32 v3, v[8:9]
	global_store_dwordx2 v[6:7], v[2:3], off
	global_load_dwordx2 v[2:3], v108, s[12:13] offset:1792
	v_add_co_u32_e32 v6, vcc, s3, v6
	s_waitcnt vmcnt(0)
	v_mul_f32_e32 v8, v5, v3
	v_mul_f32_e32 v3, v4, v3
	v_fmac_f32_e32 v8, v4, v2
	v_fma_f32 v4, v2, v5, -v3
	v_cvt_f64_f32_e32 v[2:3], v8
	v_cvt_f64_f32_e32 v[4:5], v4
	v_mov_b32_e32 v8, s6
	v_addc_co_u32_e32 v7, vcc, v7, v8, vcc
	v_mul_f64 v[2:3], v[2:3], s[0:1]
	v_mul_f64 v[4:5], v[4:5], s[0:1]
	v_cvt_f32_f64_e32 v2, v[2:3]
	v_cvt_f32_f64_e32 v3, v[4:5]
	global_store_dwordx2 v[6:7], v[2:3], off
	global_load_dwordx2 v[8:9], v108, s[12:13] offset:2240
	ds_read2_b64 v[2:5], v1 offset0:24 offset1:80
	v_add_co_u32_e32 v6, vcc, s3, v6
	s_waitcnt vmcnt(0) lgkmcnt(0)
	v_mul_f32_e32 v10, v3, v9
	v_mul_f32_e32 v9, v2, v9
	v_fmac_f32_e32 v10, v2, v8
	v_fma_f32 v8, v8, v3, -v9
	v_cvt_f64_f32_e32 v[2:3], v10
	v_cvt_f64_f32_e32 v[8:9], v8
	v_mov_b32_e32 v10, s6
	v_addc_co_u32_e32 v7, vcc, v7, v10, vcc
	v_mul_f64 v[2:3], v[2:3], s[0:1]
	v_mul_f64 v[8:9], v[8:9], s[0:1]
	v_cvt_f32_f64_e32 v2, v[2:3]
	v_cvt_f32_f64_e32 v3, v[8:9]
	global_store_dwordx2 v[6:7], v[2:3], off
	global_load_dwordx2 v[2:3], v108, s[12:13] offset:2688
	s_waitcnt vmcnt(0)
	v_mul_f32_e32 v8, v5, v3
	v_mul_f32_e32 v3, v4, v3
	v_fmac_f32_e32 v8, v4, v2
	v_fma_f32 v4, v2, v5, -v3
	v_cvt_f64_f32_e32 v[2:3], v8
	v_cvt_f64_f32_e32 v[4:5], v4
	v_mov_b32_e32 v8, s6
	v_mul_f64 v[2:3], v[2:3], s[0:1]
	v_mul_f64 v[4:5], v[4:5], s[0:1]
	v_cvt_f32_f64_e32 v2, v[2:3]
	v_cvt_f32_f64_e32 v3, v[4:5]
	v_add_co_u32_e32 v5, vcc, s3, v6
	v_addc_co_u32_e32 v6, vcc, v7, v8, vcc
	global_store_dwordx2 v[5:6], v[2:3], off
	global_load_dwordx2 v[7:8], v108, s[12:13] offset:3136
	ds_read2_b64 v[1:4], v1 offset0:136 offset1:192
	v_add_co_u32_e32 v5, vcc, s3, v5
	s_waitcnt vmcnt(0) lgkmcnt(0)
	v_mul_f32_e32 v9, v2, v8
	v_mul_f32_e32 v8, v1, v8
	v_fmac_f32_e32 v9, v1, v7
	v_fma_f32 v7, v7, v2, -v8
	v_cvt_f64_f32_e32 v[1:2], v9
	v_cvt_f64_f32_e32 v[7:8], v7
	v_mov_b32_e32 v9, s6
	v_addc_co_u32_e32 v6, vcc, v6, v9, vcc
	v_mul_f64 v[1:2], v[1:2], s[0:1]
	v_mul_f64 v[7:8], v[7:8], s[0:1]
	v_or_b32_e32 v9, 0x1c0, v107
	v_cvt_f32_f64_e32 v1, v[1:2]
	v_cvt_f32_f64_e32 v2, v[7:8]
	v_mad_u64_u32 v[7:8], s[8:9], s4, v9, 0
	global_store_dwordx2 v[5:6], v[1:2], off
	global_load_dwordx2 v[1:2], v108, s[12:13] offset:3584
	v_mad_u64_u32 v[8:9], s[8:9], s5, v9, v[8:9]
	v_mov_b32_e32 v9, s13
	v_lshlrev_b64 v[7:8], 3, v[7:8]
	s_waitcnt vmcnt(0)
	v_mul_f32_e32 v10, v4, v2
	v_mul_f32_e32 v2, v3, v2
	v_fmac_f32_e32 v10, v3, v1
	v_fma_f32 v3, v1, v4, -v2
	v_cvt_f64_f32_e32 v[1:2], v10
	v_cvt_f64_f32_e32 v[3:4], v3
	v_mul_f64 v[1:2], v[1:2], s[0:1]
	v_mul_f64 v[3:4], v[3:4], s[0:1]
	v_cvt_f32_f64_e32 v1, v[1:2]
	v_cvt_f32_f64_e32 v2, v[3:4]
	v_add_co_u32_e32 v3, vcc, v11, v7
	v_addc_co_u32_e32 v4, vcc, v12, v8, vcc
	global_store_dwordx2 v[3:4], v[1:2], off
	global_load_dwordx2 v[7:8], v108, s[12:13] offset:4032
	v_add_u32_e32 v1, 0xc00, v111
	ds_read2_b64 v[1:4], v1 offset0:120 offset1:176
	v_add_co_u32_e32 v13, vcc, s12, v108
	v_addc_co_u32_e32 v9, vcc, 0, v9, vcc
	s_waitcnt vmcnt(0) lgkmcnt(0)
	v_mul_f32_e32 v10, v2, v8
	v_mul_f32_e32 v8, v1, v8
	v_fmac_f32_e32 v10, v1, v7
	v_fma_f32 v7, v7, v2, -v8
	v_cvt_f64_f32_e32 v[1:2], v10
	v_cvt_f64_f32_e32 v[7:8], v7
	v_mov_b32_e32 v10, 0x380
	v_mad_u64_u32 v[5:6], s[8:9], s4, v10, v[5:6]
	v_mul_f64 v[1:2], v[1:2], s[0:1]
	v_mul_f64 v[7:8], v[7:8], s[0:1]
	v_add_u32_e32 v6, s7, v6
	v_cvt_f32_f64_e32 v1, v[1:2]
	v_cvt_f32_f64_e32 v2, v[7:8]
	v_add_co_u32_e32 v7, vcc, s2, v13
	v_addc_co_u32_e32 v8, vcc, 0, v9, vcc
	global_store_dwordx2 v[5:6], v[1:2], off
	global_load_dwordx2 v[1:2], v[7:8], off offset:384
	s_waitcnt vmcnt(0)
	v_mul_f32_e32 v9, v4, v2
	v_mul_f32_e32 v2, v3, v2
	v_fmac_f32_e32 v9, v3, v1
	v_fma_f32 v3, v1, v4, -v2
	v_cvt_f64_f32_e32 v[1:2], v9
	v_cvt_f64_f32_e32 v[3:4], v3
	v_mov_b32_e32 v9, s6
	v_mul_f64 v[1:2], v[1:2], s[0:1]
	v_mul_f64 v[3:4], v[3:4], s[0:1]
	v_cvt_f32_f64_e32 v1, v[1:2]
	v_cvt_f32_f64_e32 v2, v[3:4]
	v_add_co_u32_e32 v4, vcc, s3, v5
	v_addc_co_u32_e32 v5, vcc, v6, v9, vcc
	global_store_dwordx2 v[4:5], v[1:2], off
	global_load_dwordx2 v[9:10], v[7:8], off offset:832
	ds_read2_b64 v[0:3], v0 offset0:104 offset1:160
	v_add_co_u32_e32 v4, vcc, s3, v4
	s_waitcnt vmcnt(0) lgkmcnt(0)
	v_mul_f32_e32 v6, v1, v10
	v_mul_f32_e32 v10, v0, v10
	v_fmac_f32_e32 v6, v0, v9
	v_fma_f32 v9, v9, v1, -v10
	v_cvt_f64_f32_e32 v[0:1], v6
	v_cvt_f64_f32_e32 v[9:10], v9
	v_mov_b32_e32 v6, s6
	v_addc_co_u32_e32 v5, vcc, v5, v6, vcc
	v_mul_f64 v[0:1], v[0:1], s[0:1]
	v_mul_f64 v[9:10], v[9:10], s[0:1]
	v_cvt_f32_f64_e32 v0, v[0:1]
	v_cvt_f32_f64_e32 v1, v[9:10]
	global_store_dwordx2 v[4:5], v[0:1], off
	global_load_dwordx2 v[0:1], v[7:8], off offset:1280
	v_add_co_u32_e32 v4, vcc, s3, v4
	s_waitcnt vmcnt(0)
	v_mul_f32_e32 v6, v3, v1
	v_mul_f32_e32 v1, v2, v1
	v_fmac_f32_e32 v6, v2, v0
	v_fma_f32 v2, v0, v3, -v1
	v_cvt_f64_f32_e32 v[0:1], v6
	v_cvt_f64_f32_e32 v[2:3], v2
	v_mov_b32_e32 v6, s6
	v_addc_co_u32_e32 v5, vcc, v5, v6, vcc
	v_mul_f64 v[0:1], v[0:1], s[0:1]
	v_mul_f64 v[2:3], v[2:3], s[0:1]
	v_cvt_f32_f64_e32 v0, v[0:1]
	v_cvt_f32_f64_e32 v1, v[2:3]
	global_store_dwordx2 v[4:5], v[0:1], off
	global_load_dwordx2 v[9:10], v[7:8], off offset:1728
	v_add_u32_e32 v0, 0x1400, v111
	ds_read2_b64 v[0:3], v0 offset0:88 offset1:144
	v_add_co_u32_e32 v4, vcc, s3, v4
	s_waitcnt vmcnt(0) lgkmcnt(0)
	v_mul_f32_e32 v6, v1, v10
	v_mul_f32_e32 v10, v0, v10
	v_fmac_f32_e32 v6, v0, v9
	v_fma_f32 v9, v9, v1, -v10
	v_cvt_f64_f32_e32 v[0:1], v6
	v_cvt_f64_f32_e32 v[9:10], v9
	v_mov_b32_e32 v6, s6
	v_addc_co_u32_e32 v5, vcc, v5, v6, vcc
	v_mul_f64 v[0:1], v[0:1], s[0:1]
	v_mul_f64 v[9:10], v[9:10], s[0:1]
	v_cvt_f32_f64_e32 v0, v[0:1]
	v_cvt_f32_f64_e32 v1, v[9:10]
	v_mov_b32_e32 v10, s6
	global_store_dwordx2 v[4:5], v[0:1], off
	global_load_dwordx2 v[0:1], v[7:8], off offset:2176
	v_add_co_u32_e32 v4, vcc, s3, v4
	s_waitcnt vmcnt(0)
	v_mul_f32_e32 v6, v3, v1
	v_mul_f32_e32 v1, v2, v1
	v_fmac_f32_e32 v6, v2, v0
	v_fma_f32 v2, v0, v3, -v1
	v_cvt_f64_f32_e32 v[0:1], v6
	v_cvt_f64_f32_e32 v[2:3], v2
	v_mov_b32_e32 v6, s6
	v_addc_co_u32_e32 v5, vcc, v5, v6, vcc
	v_mul_f64 v[0:1], v[0:1], s[0:1]
	v_mul_f64 v[2:3], v[2:3], s[0:1]
	v_cvt_f32_f64_e32 v0, v[0:1]
	v_cvt_f32_f64_e32 v1, v[2:3]
	global_store_dwordx2 v[4:5], v[0:1], off
	global_load_dwordx2 v[6:7], v[7:8], off offset:2624
	v_add_u32_e32 v0, 0x1800, v111
	ds_read2_b64 v[0:3], v0 offset0:72 offset1:128
	v_add_co_u32_e32 v4, vcc, s3, v4
	v_addc_co_u32_e32 v5, vcc, v5, v10, vcc
	s_waitcnt vmcnt(0) lgkmcnt(0)
	v_mul_f32_e32 v8, v1, v7
	v_mul_f32_e32 v7, v0, v7
	v_fmac_f32_e32 v8, v0, v6
	v_fma_f32 v6, v6, v1, -v7
	v_cvt_f64_f32_e32 v[0:1], v8
	v_cvt_f64_f32_e32 v[6:7], v6
	v_or_b32_e32 v8, 0x380, v107
	v_lshlrev_b32_e32 v9, 3, v8
	v_mul_f64 v[0:1], v[0:1], s[0:1]
	v_mul_f64 v[6:7], v[6:7], s[0:1]
	v_cvt_f32_f64_e32 v0, v[0:1]
	v_cvt_f32_f64_e32 v1, v[6:7]
	global_store_dwordx2 v[4:5], v[0:1], off
	global_load_dwordx2 v[0:1], v9, s[12:13]
	v_mad_u64_u32 v[4:5], s[2:3], s4, v8, 0
	s_waitcnt vmcnt(0)
	v_mul_f32_e32 v6, v3, v1
	v_mul_f32_e32 v1, v2, v1
	v_fmac_f32_e32 v6, v2, v0
	v_fma_f32 v2, v0, v3, -v1
	v_cvt_f64_f32_e32 v[0:1], v6
	v_cvt_f64_f32_e32 v[2:3], v2
	v_mul_f64 v[0:1], v[0:1], s[0:1]
	v_mul_f64 v[2:3], v[2:3], s[0:1]
	v_mad_u64_u32 v[5:6], s[0:1], s5, v8, v[5:6]
	v_lshlrev_b64 v[4:5], 3, v[4:5]
	v_cvt_f32_f64_e32 v0, v[0:1]
	v_cvt_f32_f64_e32 v1, v[2:3]
	v_add_co_u32_e32 v2, vcc, v11, v4
	v_addc_co_u32_e32 v3, vcc, v12, v5, vcc
	global_store_dwordx2 v[2:3], v[0:1], off
.LBB0_23:
	s_endpgm
	.section	.rodata,"a",@progbits
	.p2align	6, 0x0
	.amdhsa_kernel bluestein_single_fwd_len952_dim1_sp_op_CI_CI
		.amdhsa_group_segment_fixed_size 22848
		.amdhsa_private_segment_fixed_size 56
		.amdhsa_kernarg_size 104
		.amdhsa_user_sgpr_count 6
		.amdhsa_user_sgpr_private_segment_buffer 1
		.amdhsa_user_sgpr_dispatch_ptr 0
		.amdhsa_user_sgpr_queue_ptr 0
		.amdhsa_user_sgpr_kernarg_segment_ptr 1
		.amdhsa_user_sgpr_dispatch_id 0
		.amdhsa_user_sgpr_flat_scratch_init 0
		.amdhsa_user_sgpr_private_segment_size 0
		.amdhsa_uses_dynamic_stack 0
		.amdhsa_system_sgpr_private_segment_wavefront_offset 1
		.amdhsa_system_sgpr_workgroup_id_x 1
		.amdhsa_system_sgpr_workgroup_id_y 0
		.amdhsa_system_sgpr_workgroup_id_z 0
		.amdhsa_system_sgpr_workgroup_info 0
		.amdhsa_system_vgpr_workitem_id 0
		.amdhsa_next_free_vgpr 256
		.amdhsa_next_free_sgpr 24
		.amdhsa_reserve_vcc 1
		.amdhsa_reserve_flat_scratch 0
		.amdhsa_float_round_mode_32 0
		.amdhsa_float_round_mode_16_64 0
		.amdhsa_float_denorm_mode_32 3
		.amdhsa_float_denorm_mode_16_64 3
		.amdhsa_dx10_clamp 1
		.amdhsa_ieee_mode 1
		.amdhsa_fp16_overflow 0
		.amdhsa_exception_fp_ieee_invalid_op 0
		.amdhsa_exception_fp_denorm_src 0
		.amdhsa_exception_fp_ieee_div_zero 0
		.amdhsa_exception_fp_ieee_overflow 0
		.amdhsa_exception_fp_ieee_underflow 0
		.amdhsa_exception_fp_ieee_inexact 0
		.amdhsa_exception_int_div_zero 0
	.end_amdhsa_kernel
	.text
.Lfunc_end0:
	.size	bluestein_single_fwd_len952_dim1_sp_op_CI_CI, .Lfunc_end0-bluestein_single_fwd_len952_dim1_sp_op_CI_CI
                                        ; -- End function
	.section	.AMDGPU.csdata,"",@progbits
; Kernel info:
; codeLenInByte = 21056
; NumSgprs: 28
; NumVgprs: 256
; ScratchSize: 56
; MemoryBound: 0
; FloatMode: 240
; IeeeMode: 1
; LDSByteSize: 22848 bytes/workgroup (compile time only)
; SGPRBlocks: 3
; VGPRBlocks: 63
; NumSGPRsForWavesPerEU: 28
; NumVGPRsForWavesPerEU: 256
; Occupancy: 1
; WaveLimiterHint : 1
; COMPUTE_PGM_RSRC2:SCRATCH_EN: 1
; COMPUTE_PGM_RSRC2:USER_SGPR: 6
; COMPUTE_PGM_RSRC2:TRAP_HANDLER: 0
; COMPUTE_PGM_RSRC2:TGID_X_EN: 1
; COMPUTE_PGM_RSRC2:TGID_Y_EN: 0
; COMPUTE_PGM_RSRC2:TGID_Z_EN: 0
; COMPUTE_PGM_RSRC2:TIDIG_COMP_CNT: 0
	.type	__hip_cuid_cfd1770b3d87df8c,@object ; @__hip_cuid_cfd1770b3d87df8c
	.section	.bss,"aw",@nobits
	.globl	__hip_cuid_cfd1770b3d87df8c
__hip_cuid_cfd1770b3d87df8c:
	.byte	0                               ; 0x0
	.size	__hip_cuid_cfd1770b3d87df8c, 1

	.ident	"AMD clang version 19.0.0git (https://github.com/RadeonOpenCompute/llvm-project roc-6.4.0 25133 c7fe45cf4b819c5991fe208aaa96edf142730f1d)"
	.section	".note.GNU-stack","",@progbits
	.addrsig
	.addrsig_sym __hip_cuid_cfd1770b3d87df8c
	.amdgpu_metadata
---
amdhsa.kernels:
  - .args:
      - .actual_access:  read_only
        .address_space:  global
        .offset:         0
        .size:           8
        .value_kind:     global_buffer
      - .actual_access:  read_only
        .address_space:  global
        .offset:         8
        .size:           8
        .value_kind:     global_buffer
      - .actual_access:  read_only
        .address_space:  global
        .offset:         16
        .size:           8
        .value_kind:     global_buffer
      - .actual_access:  read_only
        .address_space:  global
        .offset:         24
        .size:           8
        .value_kind:     global_buffer
      - .actual_access:  read_only
        .address_space:  global
        .offset:         32
        .size:           8
        .value_kind:     global_buffer
      - .offset:         40
        .size:           8
        .value_kind:     by_value
      - .address_space:  global
        .offset:         48
        .size:           8
        .value_kind:     global_buffer
      - .address_space:  global
        .offset:         56
        .size:           8
        .value_kind:     global_buffer
      - .address_space:  global
        .offset:         64
        .size:           8
        .value_kind:     global_buffer
      - .address_space:  global
        .offset:         72
        .size:           8
        .value_kind:     global_buffer
      - .offset:         80
        .size:           4
        .value_kind:     by_value
      - .address_space:  global
        .offset:         88
        .size:           8
        .value_kind:     global_buffer
      - .address_space:  global
        .offset:         96
        .size:           8
        .value_kind:     global_buffer
    .group_segment_fixed_size: 22848
    .kernarg_segment_align: 8
    .kernarg_segment_size: 104
    .language:       OpenCL C
    .language_version:
      - 2
      - 0
    .max_flat_workgroup_size: 204
    .name:           bluestein_single_fwd_len952_dim1_sp_op_CI_CI
    .private_segment_fixed_size: 56
    .sgpr_count:     28
    .sgpr_spill_count: 0
    .symbol:         bluestein_single_fwd_len952_dim1_sp_op_CI_CI.kd
    .uniform_work_group_size: 1
    .uses_dynamic_stack: false
    .vgpr_count:     256
    .vgpr_spill_count: 13
    .wavefront_size: 64
amdhsa.target:   amdgcn-amd-amdhsa--gfx906
amdhsa.version:
  - 1
  - 2
...

	.end_amdgpu_metadata
